;; amdgpu-corpus repo=ROCm/rocFFT kind=compiled arch=gfx906 opt=O3
	.text
	.amdgcn_target "amdgcn-amd-amdhsa--gfx906"
	.amdhsa_code_object_version 6
	.protected	bluestein_single_back_len637_dim1_sp_op_CI_CI ; -- Begin function bluestein_single_back_len637_dim1_sp_op_CI_CI
	.globl	bluestein_single_back_len637_dim1_sp_op_CI_CI
	.p2align	8
	.type	bluestein_single_back_len637_dim1_sp_op_CI_CI,@function
bluestein_single_back_len637_dim1_sp_op_CI_CI: ; @bluestein_single_back_len637_dim1_sp_op_CI_CI
; %bb.0:
	s_load_dwordx4 s[0:3], s[4:5], 0x28
	v_mul_u32_u24_e32 v1, 0x2d1, v0
	v_add_u32_sdwa v48, s6, v1 dst_sel:DWORD dst_unused:UNUSED_PAD src0_sel:DWORD src1_sel:WORD_1
	v_mov_b32_e32 v49, 0
	s_waitcnt lgkmcnt(0)
	v_cmp_gt_u64_e32 vcc, s[0:1], v[48:49]
	s_and_saveexec_b64 s[0:1], vcc
	s_cbranch_execz .LBB0_15
; %bb.1:
	s_load_dwordx2 s[8:9], s[4:5], 0x0
	s_load_dwordx2 s[10:11], s[4:5], 0x38
	s_movk_i32 s0, 0x5b
	v_mul_lo_u16_sdwa v1, v1, s0 dst_sel:DWORD dst_unused:UNUSED_PAD src0_sel:WORD_1 src1_sel:DWORD
	v_sub_u16_e32 v58, v0, v1
	v_cmp_gt_u16_e64 s[0:1], 49, v58
	v_lshlrev_b32_e32 v57, 3, v58
	s_and_saveexec_b64 s[6:7], s[0:1]
	s_cbranch_execz .LBB0_3
; %bb.2:
	s_load_dwordx2 s[12:13], s[4:5], 0x18
	s_waitcnt lgkmcnt(0)
	v_mov_b32_e32 v30, s9
	s_load_dwordx4 s[12:15], s[12:13], 0x0
	s_waitcnt lgkmcnt(0)
	v_mad_u64_u32 v[0:1], s[16:17], s14, v48, 0
	v_mad_u64_u32 v[2:3], s[16:17], s12, v58, 0
	;; [unrolled: 1-line block ×4, first 2 shown]
	v_mov_b32_e32 v1, v4
	v_lshlrev_b64 v[0:1], 3, v[0:1]
	v_mov_b32_e32 v3, v5
	v_mov_b32_e32 v6, s3
	v_lshlrev_b64 v[2:3], 3, v[2:3]
	v_add_co_u32_e32 v0, vcc, s2, v0
	v_addc_co_u32_e32 v1, vcc, v6, v1, vcc
	v_add_co_u32_e32 v0, vcc, v0, v2
	s_mul_i32 s2, s13, 0x188
	s_mul_hi_u32 s3, s12, 0x188
	v_addc_co_u32_e32 v1, vcc, v1, v3, vcc
	s_add_i32 s3, s3, s2
	s_mul_i32 s2, s12, 0x188
	v_mov_b32_e32 v3, s3
	v_add_co_u32_e32 v2, vcc, s2, v0
	v_addc_co_u32_e32 v3, vcc, v1, v3, vcc
	v_mov_b32_e32 v5, s3
	v_add_co_u32_e32 v4, vcc, s2, v2
	v_addc_co_u32_e32 v5, vcc, v3, v5, vcc
	;; [unrolled: 3-line block ×3, first 2 shown]
	global_load_dwordx2 v[8:9], v[0:1], off
	global_load_dwordx2 v[10:11], v[2:3], off
	;; [unrolled: 1-line block ×4, first 2 shown]
	global_load_dwordx2 v[16:17], v57, s[8:9]
	global_load_dwordx2 v[18:19], v57, s[8:9] offset:392
	global_load_dwordx2 v[20:21], v57, s[8:9] offset:784
	;; [unrolled: 1-line block ×3, first 2 shown]
	v_mov_b32_e32 v1, s3
	v_add_co_u32_e32 v0, vcc, s2, v6
	v_addc_co_u32_e32 v1, vcc, v7, v1, vcc
	global_load_dwordx2 v[2:3], v[0:1], off
	v_mov_b32_e32 v4, s3
	v_add_co_u32_e32 v0, vcc, s2, v0
	v_addc_co_u32_e32 v1, vcc, v1, v4, vcc
	v_add_co_u32_e32 v49, vcc, s8, v57
	v_addc_co_u32_e32 v50, vcc, 0, v30, vcc
	global_load_dwordx2 v[4:5], v[0:1], off
	v_mov_b32_e32 v30, s3
	v_add_co_u32_e32 v0, vcc, s2, v0
	v_addc_co_u32_e32 v1, vcc, v1, v30, vcc
	v_mov_b32_e32 v31, s3
	v_add_co_u32_e32 v30, vcc, s2, v0
	v_addc_co_u32_e32 v31, vcc, v1, v31, vcc
	global_load_dwordx2 v[6:7], v57, s[8:9] offset:1568
	global_load_dwordx2 v[24:25], v57, s[8:9] offset:1960
	global_load_dwordx2 v[26:27], v57, s[8:9] offset:2352
	global_load_dwordx2 v[28:29], v57, s[8:9] offset:2744
	global_load_dwordx2 v[32:33], v[0:1], off
	global_load_dwordx2 v[34:35], v[30:31], off
	v_mov_b32_e32 v1, s3
	v_add_co_u32_e32 v0, vcc, s2, v30
	v_addc_co_u32_e32 v1, vcc, v31, v1, vcc
	global_load_dwordx2 v[30:31], v[0:1], off
	v_mov_b32_e32 v36, s3
	v_add_co_u32_e32 v0, vcc, s2, v0
	v_addc_co_u32_e32 v1, vcc, v1, v36, vcc
	;; [unrolled: 4-line block ×3, first 2 shown]
	global_load_dwordx2 v[38:39], v[0:1], off
	global_load_dwordx2 v[40:41], v57, s[8:9] offset:3136
	global_load_dwordx2 v[42:43], v57, s[8:9] offset:3528
	;; [unrolled: 1-line block ×3, first 2 shown]
	v_mov_b32_e32 v46, s3
	v_add_co_u32_e32 v0, vcc, s2, v0
	v_addc_co_u32_e32 v1, vcc, v1, v46, vcc
	v_mov_b32_e32 v53, s3
	s_movk_i32 s3, 0x1000
	v_add_co_u32_e32 v49, vcc, s3, v49
	v_addc_co_u32_e32 v50, vcc, 0, v50, vcc
	global_load_dwordx2 v[46:47], v[0:1], off
	global_load_dwordx2 v[51:52], v[49:50], off offset:216
	v_add_co_u32_e32 v0, vcc, s2, v0
	v_addc_co_u32_e32 v1, vcc, v1, v53, vcc
	global_load_dwordx2 v[53:54], v[0:1], off
	global_load_dwordx2 v[55:56], v[49:50], off offset:608
	s_waitcnt vmcnt(21)
	v_mul_f32_e32 v0, v9, v17
	v_mul_f32_e32 v1, v8, v17
	v_fmac_f32_e32 v0, v8, v16
	s_waitcnt vmcnt(20)
	v_mul_f32_e32 v8, v10, v19
	v_fma_f32 v1, v9, v16, -v1
	v_fma_f32 v9, v11, v18, -v8
	v_mul_f32_e32 v8, v11, v19
	v_fmac_f32_e32 v8, v10, v18
	ds_write2_b64 v57, v[0:1], v[8:9] offset1:49
	s_waitcnt vmcnt(19)
	v_mul_f32_e32 v0, v13, v21
	v_mul_f32_e32 v1, v12, v21
	s_waitcnt vmcnt(18)
	v_mul_f32_e32 v8, v15, v23
	v_mul_f32_e32 v9, v14, v23
	v_fmac_f32_e32 v0, v12, v20
	v_fma_f32 v1, v13, v20, -v1
	v_fmac_f32_e32 v8, v14, v22
	v_fma_f32 v9, v15, v22, -v9
	ds_write2_b64 v57, v[0:1], v[8:9] offset0:98 offset1:147
	s_waitcnt vmcnt(15)
	v_mul_f32_e32 v10, v3, v7
	v_mul_f32_e32 v7, v2, v7
	s_waitcnt vmcnt(14)
	v_mul_f32_e32 v0, v5, v25
	v_mul_f32_e32 v1, v4, v25
	v_fmac_f32_e32 v10, v2, v6
	v_fma_f32 v11, v3, v6, -v7
	v_fmac_f32_e32 v0, v4, v24
	v_fma_f32 v1, v5, v24, -v1
	ds_write2_b64 v57, v[10:11], v[0:1] offset0:196 offset1:245
	s_waitcnt vmcnt(11)
	v_mul_f32_e32 v0, v33, v27
	v_mul_f32_e32 v1, v32, v27
	s_waitcnt vmcnt(10)
	v_mul_f32_e32 v2, v35, v29
	v_mul_f32_e32 v3, v34, v29
	v_fmac_f32_e32 v0, v32, v26
	v_fma_f32 v1, v33, v26, -v1
	v_fmac_f32_e32 v2, v34, v28
	v_fma_f32 v3, v35, v28, -v3
	v_add_u32_e32 v4, 0x800, v57
	ds_write2_b64 v4, v[0:1], v[2:3] offset0:38 offset1:87
	s_waitcnt vmcnt(6)
	v_mul_f32_e32 v0, v31, v41
	v_mul_f32_e32 v1, v30, v41
	s_waitcnt vmcnt(5)
	v_mul_f32_e32 v2, v37, v43
	v_mul_f32_e32 v3, v36, v43
	v_fmac_f32_e32 v0, v30, v40
	v_fma_f32 v1, v31, v40, -v1
	v_fmac_f32_e32 v2, v36, v42
	v_fma_f32 v3, v37, v42, -v3
	ds_write2_b64 v4, v[0:1], v[2:3] offset0:136 offset1:185
	s_waitcnt vmcnt(4)
	v_mul_f32_e32 v0, v39, v45
	v_mul_f32_e32 v1, v38, v45
	v_fmac_f32_e32 v0, v38, v44
	v_fma_f32 v1, v39, v44, -v1
	v_add_u32_e32 v4, 0xc00, v57
	s_waitcnt vmcnt(2)
	v_mul_f32_e32 v2, v47, v52
	v_mul_f32_e32 v3, v46, v52
	v_fmac_f32_e32 v2, v46, v51
	v_fma_f32 v3, v47, v51, -v3
	ds_write2_b64 v4, v[0:1], v[2:3] offset0:106 offset1:155
	s_waitcnt vmcnt(0)
	v_mul_f32_e32 v0, v54, v56
	v_mul_f32_e32 v1, v53, v56
	v_fmac_f32_e32 v0, v53, v55
	v_fma_f32 v1, v54, v55, -v1
	ds_write_b64 v57, v[0:1] offset:4704
.LBB0_3:
	s_or_b64 exec, exec, s[6:7]
	s_load_dwordx2 s[6:7], s[4:5], 0x20
	s_load_dwordx2 s[2:3], s[4:5], 0x8
	v_mov_b32_e32 v12, 0
	v_mov_b32_e32 v13, 0
	s_waitcnt lgkmcnt(0)
	s_barrier
	s_waitcnt lgkmcnt(0)
                                        ; implicit-def: $vgpr18
                                        ; implicit-def: $vgpr24
                                        ; implicit-def: $vgpr32
                                        ; implicit-def: $vgpr8
                                        ; implicit-def: $vgpr30
                                        ; implicit-def: $vgpr22
	s_and_saveexec_b64 s[4:5], s[0:1]
	s_cbranch_execz .LBB0_5
; %bb.4:
	v_add_u32_e32 v0, 0x800, v57
	ds_read2_b64 v[12:15], v57 offset1:49
	ds_read2_b64 v[20:23], v57 offset0:98 offset1:147
	ds_read2_b64 v[28:31], v57 offset0:196 offset1:245
	;; [unrolled: 1-line block ×4, first 2 shown]
	v_add_u32_e32 v0, 0xc00, v57
	ds_read2_b64 v[32:35], v0 offset0:106 offset1:155
	ds_read_b64 v[8:9], v57 offset:4704
.LBB0_5:
	s_or_b64 exec, exec, s[4:5]
	s_waitcnt lgkmcnt(0)
	v_sub_f32_e32 v10, v15, v9
	v_mul_f32_e32 v36, 0xbeedf032, v10
	v_sub_f32_e32 v11, v21, v35
	v_add_f32_e32 v43, v8, v14
	v_mov_b32_e32 v0, v36
	v_mul_f32_e32 v37, 0xbf52af12, v11
	v_fmac_f32_e32 v0, 0x3f62ad3f, v43
	v_add_f32_e32 v46, v34, v20
	v_mov_b32_e32 v1, v37
	v_sub_f32_e32 v59, v14, v8
	v_add_f32_e32 v44, v9, v15
	v_add_f32_e32 v0, v0, v12
	v_fmac_f32_e32 v1, 0x3f116cb1, v46
	s_mov_b32 s5, 0x3f62ad3f
	v_mul_f32_e32 v38, 0xbeedf032, v59
	v_sub_f32_e32 v116, v20, v34
	v_add_f32_e32 v0, v1, v0
	v_fma_f32 v1, v44, s5, -v38
	s_mov_b32 s4, 0x3f116cb1
	v_add_f32_e32 v51, v35, v21
	v_mul_f32_e32 v39, 0xbf52af12, v116
	v_sub_f32_e32 v117, v23, v33
	v_add_f32_e32 v1, v1, v13
	v_fma_f32 v2, v51, s4, -v39
	v_mul_f32_e32 v40, 0xbf7e222b, v117
	v_add_f32_e32 v1, v2, v1
	v_add_f32_e32 v52, v32, v22
	v_mov_b32_e32 v2, v40
	v_sub_f32_e32 v118, v22, v32
	v_fmac_f32_e32 v2, 0x3df6dbef, v52
	s_mov_b32 s12, 0x3df6dbef
	v_add_f32_e32 v54, v33, v23
	v_mul_f32_e32 v41, 0xbf7e222b, v118
	v_sub_f32_e32 v119, v29, v27
	v_add_f32_e32 v0, v2, v0
	v_fma_f32 v2, v54, s12, -v41
	v_mul_f32_e32 v42, 0xbf6f5d39, v119
	v_add_f32_e32 v1, v2, v1
	v_add_f32_e32 v56, v26, v28
	v_mov_b32_e32 v2, v42
	v_sub_f32_e32 v123, v28, v26
	v_fmac_f32_e32 v2, 0xbeb58ec6, v56
	;; [unrolled: 12-line block ×3, first 2 shown]
	s_mov_b32 s14, 0xbf3f9e67
	v_add_f32_e32 v64, v25, v31
	v_mul_f32_e32 v53, 0xbf29c268, v125
	v_sub_f32_e32 v126, v17, v19
	v_add_f32_e32 v0, v2, v0
	v_fma_f32 v2, v64, s14, -v53
	v_mul_f32_e32 v55, 0xbe750f2a, v126
	v_add_f32_e32 v1, v2, v1
	v_add_f32_e32 v73, v18, v16
	v_mov_b32_e32 v2, v55
	v_sub_f32_e32 v127, v16, v18
	s_mov_b32 s15, 0xbf788fa5
	v_fmac_f32_e32 v2, 0xbf788fa5, v73
	v_add_f32_e32 v76, v19, v17
	v_mul_f32_e32 v61, 0xbe750f2a, v127
	v_add_f32_e32 v49, v2, v0
	v_fma_f32 v0, v76, s15, -v61
	v_mul_f32_e32 v63, 0xbf52af12, v10
	v_add_f32_e32 v50, v0, v1
	v_mov_b32_e32 v0, v63
	v_mul_f32_e32 v65, 0xbf6f5d39, v11
	v_fmac_f32_e32 v0, 0x3f116cb1, v43
	v_mov_b32_e32 v1, v65
	v_add_f32_e32 v0, v0, v12
	v_fmac_f32_e32 v1, 0xbeb58ec6, v46
	v_mul_f32_e32 v68, 0xbf52af12, v59
	v_add_f32_e32 v0, v1, v0
	v_fma_f32 v1, v44, s4, -v68
	v_mul_f32_e32 v70, 0xbf6f5d39, v116
	v_add_f32_e32 v1, v1, v13
	v_fma_f32 v2, v51, s13, -v70
	v_mul_f32_e32 v66, 0xbe750f2a, v117
	v_add_f32_e32 v1, v2, v1
	v_mov_b32_e32 v2, v66
	v_fmac_f32_e32 v2, 0xbf788fa5, v52
	v_mul_f32_e32 v72, 0xbe750f2a, v118
	v_add_f32_e32 v0, v2, v0
	v_fma_f32 v2, v54, s15, -v72
	v_mul_f32_e32 v67, 0x3f29c268, v119
	v_add_f32_e32 v1, v2, v1
	v_mov_b32_e32 v2, v67
	v_fmac_f32_e32 v2, 0xbf3f9e67, v56
	;; [unrolled: 7-line block ×4, first 2 shown]
	v_mul_f32_e32 v77, 0x3eedf032, v127
	v_mul_f32_e32 v78, 0xbf7e222b, v10
	v_fma_f32 v3, v76, s5, -v77
	v_add_f32_e32 v2, v2, v0
	v_mov_b32_e32 v0, v78
	v_mul_f32_e32 v79, 0xbe750f2a, v11
	v_add_f32_e32 v3, v3, v1
	v_fmac_f32_e32 v0, 0x3df6dbef, v43
	v_mov_b32_e32 v1, v79
	v_add_f32_e32 v0, v0, v12
	v_fmac_f32_e32 v1, 0xbf788fa5, v46
	v_mul_f32_e32 v80, 0x3f6f5d39, v117
	v_add_f32_e32 v0, v1, v0
	v_mov_b32_e32 v1, v80
	v_fmac_f32_e32 v1, 0xbeb58ec6, v52
	v_mul_f32_e32 v81, 0x3eedf032, v119
	v_add_f32_e32 v0, v1, v0
	v_mov_b32_e32 v1, v81
	;; [unrolled: 4-line block ×4, first 2 shown]
	v_fmac_f32_e32 v1, 0xbf3f9e67, v73
	v_mul_f32_e32 v84, 0xbf7e222b, v59
	v_add_f32_e32 v0, v1, v0
	v_fma_f32 v1, v44, s12, -v84
	v_mul_f32_e32 v85, 0xbe750f2a, v116
	v_add_f32_e32 v1, v1, v13
	v_fma_f32 v4, v51, s15, -v85
	v_mul_f32_e32 v86, 0x3f6f5d39, v118
	v_add_f32_e32 v1, v4, v1
	v_fma_f32 v4, v54, s13, -v86
	v_mul_f32_e32 v87, 0x3eedf032, v123
	v_add_f32_e32 v1, v4, v1
	v_fma_f32 v4, v60, s5, -v87
	v_mul_f32_e32 v88, 0xbf52af12, v125
	v_add_f32_e32 v1, v4, v1
	v_fma_f32 v4, v64, s4, -v88
	v_mul_f32_e32 v89, 0xbf29c268, v127
	v_add_f32_e32 v1, v4, v1
	v_fma_f32 v4, v76, s14, -v89
	v_mul_f32_e32 v90, 0xbf6f5d39, v10
	v_add_f32_e32 v1, v4, v1
	v_mov_b32_e32 v4, v90
	v_mul_f32_e32 v91, 0x3f29c268, v11
	v_fmac_f32_e32 v4, 0xbeb58ec6, v43
	v_mov_b32_e32 v5, v91
	v_add_f32_e32 v4, v4, v12
	v_fmac_f32_e32 v5, 0xbf3f9e67, v46
	v_mul_f32_e32 v96, 0xbf6f5d39, v59
	v_add_f32_e32 v4, v5, v4
	v_fma_f32 v5, v44, s13, -v96
	v_mul_f32_e32 v97, 0x3f29c268, v116
	v_add_f32_e32 v5, v5, v13
	v_fma_f32 v6, v51, s14, -v97
	v_mul_f32_e32 v92, 0x3eedf032, v117
	v_add_f32_e32 v5, v6, v5
	v_mov_b32_e32 v6, v92
	v_fmac_f32_e32 v6, 0x3f62ad3f, v52
	v_mul_f32_e32 v98, 0x3eedf032, v118
	v_add_f32_e32 v4, v6, v4
	v_fma_f32 v6, v54, s5, -v98
	v_mul_f32_e32 v93, 0xbf7e222b, v119
	v_add_f32_e32 v5, v6, v5
	v_mov_b32_e32 v6, v93
	v_fmac_f32_e32 v6, 0x3df6dbef, v56
	v_mul_f32_e32 v99, 0xbf7e222b, v123
	v_add_f32_e32 v4, v6, v4
	v_fma_f32 v6, v60, s12, -v99
	v_mul_f32_e32 v94, 0x3e750f2a, v124
	v_add_f32_e32 v5, v6, v5
	v_mov_b32_e32 v6, v94
	v_fmac_f32_e32 v6, 0xbf788fa5, v62
	v_mul_f32_e32 v100, 0x3e750f2a, v125
	v_add_f32_e32 v4, v6, v4
	v_fma_f32 v6, v64, s15, -v100
	v_mul_f32_e32 v95, 0x3f52af12, v126
	v_add_f32_e32 v5, v6, v5
	v_mov_b32_e32 v6, v95
	v_fmac_f32_e32 v6, 0x3f116cb1, v73
	v_mul_f32_e32 v101, 0x3f52af12, v127
	v_mul_f32_e32 v107, 0xbf29c268, v10
	v_fma_f32 v7, v76, s4, -v101
	v_add_f32_e32 v6, v6, v4
	v_mov_b32_e32 v4, v107
	v_mul_f32_e32 v106, 0x3f7e222b, v11
	v_add_f32_e32 v7, v7, v5
	v_fmac_f32_e32 v4, 0xbf3f9e67, v43
	v_mov_b32_e32 v5, v106
	v_add_f32_e32 v4, v4, v12
	v_fmac_f32_e32 v5, 0x3df6dbef, v46
	v_mul_f32_e32 v102, 0xbf52af12, v117
	v_add_f32_e32 v4, v5, v4
	v_mov_b32_e32 v5, v102
	v_fmac_f32_e32 v5, 0x3f116cb1, v52
	v_mul_f32_e32 v103, 0x3e750f2a, v119
	v_add_f32_e32 v4, v5, v4
	v_mov_b32_e32 v5, v103
	;; [unrolled: 4-line block ×4, first 2 shown]
	v_fmac_f32_e32 v5, 0xbeb58ec6, v73
	v_mul_f32_e32 v112, 0xbf29c268, v59
	v_add_f32_e32 v4, v5, v4
	v_fma_f32 v5, v44, s14, -v112
	v_mul_f32_e32 v113, 0x3f7e222b, v116
	v_add_f32_e32 v5, v5, v13
	v_fma_f32 v108, v51, s12, -v113
	;; [unrolled: 3-line block ×5, first 2 shown]
	v_add_f32_e32 v5, v108, v5
	v_mul_f32_e32 v108, 0xbf6f5d39, v127
	v_fma_f32 v114, v76, s13, -v108
	v_add_f32_e32 v5, v114, v5
	v_mul_f32_e32 v114, 0xbe750f2a, v10
	v_mov_b32_e32 v10, v114
	v_mul_f32_e32 v115, 0x3eedf032, v11
	v_fmac_f32_e32 v10, 0xbf788fa5, v43
	v_mov_b32_e32 v11, v115
	v_add_f32_e32 v10, v10, v12
	v_fmac_f32_e32 v11, 0x3f62ad3f, v46
	v_mul_f32_e32 v120, 0xbe750f2a, v59
	v_add_f32_e32 v10, v11, v10
	v_fma_f32 v11, v44, s15, -v120
	v_mul_f32_e32 v121, 0x3eedf032, v116
	v_add_f32_e32 v11, v11, v13
	v_fma_f32 v59, v51, s5, -v121
	v_mul_f32_e32 v116, 0xbf29c268, v117
	v_add_f32_e32 v11, v59, v11
	v_mov_b32_e32 v59, v116
	v_fmac_f32_e32 v59, 0xbf3f9e67, v52
	v_mul_f32_e32 v122, 0xbf29c268, v118
	v_add_f32_e32 v10, v59, v10
	v_fma_f32 v59, v54, s14, -v122
	v_mul_f32_e32 v117, 0x3f52af12, v119
	v_add_f32_e32 v11, v59, v11
	v_mov_b32_e32 v59, v117
	v_fmac_f32_e32 v59, 0x3f116cb1, v56
	v_mul_f32_e32 v123, 0x3f52af12, v123
	v_add_f32_e32 v10, v59, v10
	v_fma_f32 v59, v60, s4, -v123
	v_mul_f32_e32 v118, 0xbf6f5d39, v124
	v_add_f32_e32 v11, v59, v11
	v_mov_b32_e32 v59, v118
	v_fmac_f32_e32 v59, 0xbeb58ec6, v62
	v_mul_f32_e32 v124, 0xbf6f5d39, v125
	v_add_f32_e32 v10, v59, v10
	v_fma_f32 v59, v64, s13, -v124
	v_mul_f32_e32 v119, 0x3f7e222b, v126
	v_add_f32_e32 v11, v59, v11
	v_mul_f32_e32 v125, 0x3f7e222b, v127
	v_mov_b32_e32 v59, v119
	v_fmac_f32_e32 v59, 0x3df6dbef, v73
	v_fma_f32 v126, v76, s12, -v125
	v_add_f32_e32 v10, v59, v10
	v_add_f32_e32 v11, v126, v11
	v_mul_lo_u16_e32 v59, 13, v58
	s_barrier
	s_and_saveexec_b64 s[4:5], s[0:1]
	s_cbranch_execz .LBB0_7
; %bb.6:
	v_mul_f32_e32 v126, 0xbf788fa5, v44
	v_add_f32_e32 v120, v120, v126
	v_mul_f32_e32 v126, 0x3f62ad3f, v51
	v_add_f32_e32 v121, v121, v126
	v_add_f32_e32 v120, v120, v13
	;; [unrolled: 1-line block ×3, first 2 shown]
	v_mul_f32_e32 v121, 0xbf3f9e67, v54
	v_add_f32_e32 v121, v122, v121
	v_add_f32_e32 v120, v121, v120
	v_mul_f32_e32 v121, 0x3f116cb1, v60
	v_add_f32_e32 v121, v123, v121
	v_add_f32_e32 v120, v121, v120
	v_mul_f32_e32 v121, 0xbeb58ec6, v64
	v_add_f32_e32 v121, v124, v121
	v_mul_f32_e32 v124, 0xbf788fa5, v43
	v_sub_f32_e32 v114, v124, v114
	v_mul_f32_e32 v124, 0x3f62ad3f, v46
	v_sub_f32_e32 v115, v124, v115
	v_add_f32_e32 v114, v114, v12
	v_add_f32_e32 v114, v115, v114
	v_mul_f32_e32 v115, 0xbf3f9e67, v52
	v_sub_f32_e32 v115, v115, v116
	v_add_f32_e32 v114, v115, v114
	v_mul_f32_e32 v115, 0x3f116cb1, v56
	v_sub_f32_e32 v115, v115, v117
	;; [unrolled: 3-line block ×4, first 2 shown]
	v_mul_f32_e32 v123, 0x3f62ad3f, v44
	v_mul_f32_e32 v116, 0x3f116cb1, v44
	;; [unrolled: 1-line block ×3, first 2 shown]
	v_add_f32_e32 v114, v119, v114
	v_mul_f32_e32 v119, 0xbeb58ec6, v44
	v_mul_f32_e32 v44, 0xbf3f9e67, v44
	v_add_f32_e32 v44, v112, v44
	v_mul_f32_e32 v112, 0x3df6dbef, v51
	v_add_f32_e32 v112, v113, v112
	v_add_f32_e32 v44, v44, v13
	v_add_f32_e32 v44, v112, v44
	v_mul_f32_e32 v112, 0x3f116cb1, v54
	v_add_f32_e32 v111, v111, v112
	v_add_f32_e32 v44, v111, v44
	v_mul_f32_e32 v111, 0xbf788fa5, v60
	v_add_f32_e32 v120, v121, v120
	v_mul_f32_e32 v121, 0x3df6dbef, v76
	v_add_f32_e32 v110, v110, v111
	v_mul_f32_e32 v122, 0x3f62ad3f, v43
	v_add_f32_e32 v121, v125, v121
	v_mul_f32_e32 v124, 0x3f116cb1, v43
	v_mul_f32_e32 v117, 0x3df6dbef, v43
	v_mul_f32_e32 v125, 0xbeb58ec6, v43
	v_mul_f32_e32 v43, 0xbf3f9e67, v43
	v_add_f32_e32 v44, v110, v44
	v_mul_f32_e32 v110, 0x3f62ad3f, v64
	v_add_f32_e32 v115, v121, v120
	v_mul_f32_e32 v120, 0x3f116cb1, v46
	v_mul_f32_e32 v112, 0xbeb58ec6, v46
	v_add_f32_e32 v109, v109, v110
	v_mul_f32_e32 v110, 0xbf788fa5, v46
	v_sub_f32_e32 v43, v43, v107
	v_mul_f32_e32 v107, 0xbf3f9e67, v46
	v_mul_f32_e32 v46, 0x3df6dbef, v46
	v_sub_f32_e32 v46, v46, v106
	v_add_f32_e32 v43, v43, v12
	v_add_f32_e32 v43, v46, v43
	v_mul_f32_e32 v46, 0x3f116cb1, v52
	v_sub_f32_e32 v46, v46, v102
	v_add_f32_e32 v43, v46, v43
	v_mul_f32_e32 v46, 0xbf788fa5, v56
	v_sub_f32_e32 v46, v46, v103
	;; [unrolled: 3-line block ×3, first 2 shown]
	v_add_f32_e32 v44, v109, v44
	v_mul_f32_e32 v109, 0xbeb58ec6, v76
	v_add_f32_e32 v43, v46, v43
	v_mul_f32_e32 v46, 0xbeb58ec6, v73
	v_mul_f32_e32 v113, 0x3f116cb1, v51
	;; [unrolled: 1-line block ×3, first 2 shown]
	v_add_f32_e32 v108, v108, v109
	v_mul_f32_e32 v109, 0xbf788fa5, v51
	v_mul_f32_e32 v51, 0xbf3f9e67, v51
	v_sub_f32_e32 v46, v46, v105
	v_add_f32_e32 v96, v96, v119
	v_mul_f32_e32 v102, 0x3df6dbef, v54
	v_mul_f32_e32 v104, 0xbf788fa5, v54
	v_add_f32_e32 v43, v46, v43
	v_mul_f32_e32 v46, 0xbeb58ec6, v54
	v_mul_f32_e32 v54, 0x3f62ad3f, v54
	v_add_f32_e32 v51, v97, v51
	v_add_f32_e32 v96, v96, v13
	;; [unrolled: 1-line block ×4, first 2 shown]
	v_mul_f32_e32 v119, 0xbeb58ec6, v60
	v_mul_f32_e32 v96, 0xbf3f9e67, v60
	v_add_f32_e32 v51, v54, v51
	v_mul_f32_e32 v54, 0x3f62ad3f, v60
	v_mul_f32_e32 v60, 0x3df6dbef, v60
	v_add_f32_e32 v60, v99, v60
	v_add_f32_e32 v51, v60, v51
	v_mul_f32_e32 v60, 0xbf788fa5, v64
	v_sub_f32_e32 v90, v125, v90
	v_mul_f32_e32 v106, 0x3df6dbef, v52
	v_mul_f32_e32 v103, 0xbf788fa5, v52
	;; [unrolled: 1-line block ×4, first 2 shown]
	v_add_f32_e32 v60, v100, v60
	v_sub_f32_e32 v91, v107, v91
	v_add_f32_e32 v90, v90, v12
	v_add_f32_e32 v44, v108, v44
	v_mul_f32_e32 v108, 0xbeb58ec6, v56
	v_mul_f32_e32 v97, 0xbf3f9e67, v56
	;; [unrolled: 1-line block ×4, first 2 shown]
	v_add_f32_e32 v51, v60, v51
	v_mul_f32_e32 v60, 0x3f116cb1, v76
	v_add_f32_e32 v90, v91, v90
	v_sub_f32_e32 v52, v52, v92
	v_mul_f32_e32 v99, 0xbf3f9e67, v62
	v_add_f32_e32 v60, v101, v60
	v_mul_f32_e32 v101, 0x3df6dbef, v62
	v_mul_f32_e32 v107, 0x3f116cb1, v62
	;; [unrolled: 1-line block ×3, first 2 shown]
	v_add_f32_e32 v52, v52, v90
	v_sub_f32_e32 v56, v56, v93
	v_mul_f32_e32 v91, 0xbf788fa5, v73
	v_mul_f32_e32 v90, 0x3f62ad3f, v73
	v_add_f32_e32 v56, v56, v52
	v_mul_f32_e32 v125, 0xbf3f9e67, v73
	v_mul_f32_e32 v73, 0x3f116cb1, v73
	v_add_f32_e32 v52, v60, v51
	v_sub_f32_e32 v51, v62, v94
	v_add_f32_e32 v51, v51, v56
	v_sub_f32_e32 v56, v73, v95
	v_add_f32_e32 v51, v56, v51
	v_add_f32_e32 v56, v84, v118
	;; [unrolled: 1-line block ×6, first 2 shown]
	v_mul_f32_e32 v100, 0xbf3f9e67, v64
	v_mul_f32_e32 v121, 0x3df6dbef, v64
	;; [unrolled: 1-line block ×3, first 2 shown]
	v_add_f32_e32 v46, v46, v56
	v_add_f32_e32 v54, v87, v54
	v_mul_f32_e32 v92, 0xbf788fa5, v76
	v_mul_f32_e32 v93, 0x3f62ad3f, v76
	;; [unrolled: 1-line block ×3, first 2 shown]
	v_add_f32_e32 v46, v54, v46
	v_add_f32_e32 v54, v88, v64
	;; [unrolled: 1-line block ×5, first 2 shown]
	v_sub_f32_e32 v46, v117, v78
	v_add_f32_e32 v46, v46, v12
	v_sub_f32_e32 v54, v110, v79
	v_add_f32_e32 v46, v54, v46
	v_sub_f32_e32 v54, v105, v80
	v_add_f32_e32 v46, v54, v46
	v_sub_f32_e32 v54, v98, v81
	v_add_f32_e32 v46, v54, v46
	v_sub_f32_e32 v54, v107, v82
	v_add_f32_e32 v46, v54, v46
	v_sub_f32_e32 v54, v125, v83
	v_add_f32_e32 v83, v54, v46
	v_add_f32_e32 v46, v68, v116
	v_add_f32_e32 v46, v46, v13
	;; [unrolled: 1-line block ×12, first 2 shown]
	v_sub_f32_e32 v46, v124, v63
	v_add_f32_e32 v38, v38, v123
	v_sub_f32_e32 v36, v122, v36
	v_add_f32_e32 v46, v46, v12
	v_add_f32_e32 v38, v38, v13
	;; [unrolled: 1-line block ×16, first 2 shown]
	v_sub_f32_e32 v37, v120, v37
	v_add_f32_e32 v13, v19, v13
	v_add_f32_e32 v12, v18, v12
	v_sub_f32_e32 v54, v112, v65
	v_add_f32_e32 v38, v39, v38
	v_add_f32_e32 v39, v41, v102
	v_add_f32_e32 v36, v37, v36
	v_sub_f32_e32 v37, v106, v40
	v_add_f32_e32 v13, v25, v13
	;; [unrolled: 4-line block ×9, first 2 shown]
	v_add_f32_e32 v37, v37, v36
	v_add_f32_e32 v9, v9, v13
	;; [unrolled: 1-line block ×3, first 2 shown]
	v_lshlrev_b32_e32 v12, 3, v59
	v_add_f32_e32 v63, v54, v46
	ds_write2_b64 v12, v[8:9], v[37:38] offset1:1
	ds_write2_b64 v12, v[63:64], v[83:84] offset0:2 offset1:3
	ds_write2_b64 v12, v[51:52], v[43:44] offset0:4 offset1:5
	;; [unrolled: 1-line block ×5, first 2 shown]
	ds_write_b64 v12, v[49:50] offset:96
.LBB0_7:
	s_or_b64 exec, exec, s[4:5]
	s_movk_i32 s12, 0x4f
	v_mul_lo_u16_sdwa v8, v58, s12 dst_sel:DWORD dst_unused:UNUSED_PAD src0_sel:BYTE_0 src1_sel:DWORD
	v_lshrrev_b16_e32 v36, 10, v8
	v_mul_lo_u16_e32 v8, 13, v36
	v_sub_u16_e32 v8, v58, v8
	v_and_b32_e32 v37, 0xff, v8
	v_mul_u32_u24_e32 v8, 6, v37
	v_lshlrev_b32_e32 v8, 3, v8
	s_load_dwordx4 s[4:7], s[6:7], 0x0
	s_waitcnt lgkmcnt(0)
	s_barrier
	global_load_dwordx4 v[20:23], v8, s[2:3]
	global_load_dwordx4 v[16:19], v8, s[2:3] offset:16
	global_load_dwordx4 v[12:15], v8, s[2:3] offset:32
	v_add_u32_e32 v52, 0x400, v57
	v_add_u32_e32 v51, 0x800, v57
	ds_read2_b64 v[24:27], v57 offset1:91
	ds_read_b64 v[8:9], v57 offset:4368
	ds_read2_b64 v[28:31], v52 offset0:54 offset1:145
	ds_read2_b64 v[32:35], v51 offset0:108 offset1:199
	s_mov_b32 s13, 0x3f3bfb3b
	s_mov_b32 s12, 0x3f5ff5aa
	;; [unrolled: 1-line block ×4, first 2 shown]
	v_mul_u32_u24_e32 v36, 0x5b, v36
	v_add_lshl_u32 v60, v36, v37, 3
	s_waitcnt vmcnt(0) lgkmcnt(0)
	s_barrier
	v_mul_f32_e32 v38, v27, v21
	v_mul_f32_e32 v39, v26, v21
	;; [unrolled: 1-line block ×12, first 2 shown]
	v_fma_f32 v26, v26, v20, -v38
	v_fmac_f32_e32 v39, v27, v20
	v_fma_f32 v27, v28, v22, -v40
	v_fmac_f32_e32 v41, v29, v22
	v_fma_f32 v28, v30, v16, -v42
	v_fma_f32 v30, v34, v12, -v46
	v_fmac_f32_e32 v47, v35, v12
	v_fma_f32 v8, v8, v14, -v53
	v_fmac_f32_e32 v54, v9, v14
	v_fmac_f32_e32 v43, v31, v16
	v_fma_f32 v29, v32, v18, -v44
	v_fmac_f32_e32 v45, v33, v18
	v_add_f32_e32 v9, v26, v8
	v_add_f32_e32 v31, v39, v54
	;; [unrolled: 1-line block ×4, first 2 shown]
	v_sub_f32_e32 v8, v26, v8
	v_sub_f32_e32 v26, v39, v54
	v_sub_f32_e32 v27, v27, v30
	v_sub_f32_e32 v30, v41, v47
	v_add_f32_e32 v34, v28, v29
	v_add_f32_e32 v35, v43, v45
	v_sub_f32_e32 v28, v29, v28
	v_sub_f32_e32 v29, v45, v43
	v_add_f32_e32 v38, v32, v9
	v_add_f32_e32 v39, v33, v31
	v_sub_f32_e32 v40, v32, v9
	v_sub_f32_e32 v41, v33, v31
	;; [unrolled: 1-line block ×6, first 2 shown]
	v_add_f32_e32 v42, v28, v27
	v_add_f32_e32 v43, v29, v30
	;; [unrolled: 1-line block ×4, first 2 shown]
	v_sub_f32_e32 v44, v28, v27
	v_sub_f32_e32 v45, v29, v30
	;; [unrolled: 1-line block ×6, first 2 shown]
	v_add_f32_e32 v38, v42, v8
	v_add_f32_e32 v26, v43, v26
	v_mul_f32_e32 v39, 0x3f4a47b2, v9
	v_mul_f32_e32 v42, 0x3d64c772, v32
	;; [unrolled: 1-line block ×3, first 2 shown]
	v_add_f32_e32 v8, v24, v34
	v_add_f32_e32 v9, v25, v35
	v_mul_f32_e32 v31, 0x3f4a47b2, v31
	v_mul_f32_e32 v44, 0xbf08b237, v44
	;; [unrolled: 1-line block ×3, first 2 shown]
	v_fma_f32 v24, v40, s13, -v42
	v_fma_f32 v25, v41, s13, -v43
	v_mov_b32_e32 v42, v8
	v_mov_b32_e32 v43, v9
	v_mul_f32_e32 v46, 0x3f5ff5aa, v27
	v_mul_f32_e32 v47, 0x3f5ff5aa, v30
	v_fmac_f32_e32 v42, 0xbf955555, v34
	v_fmac_f32_e32 v43, 0xbf955555, v35
	v_fma_f32 v34, v40, s14, -v39
	v_fmac_f32_e32 v39, 0x3d64c772, v32
	v_fma_f32 v32, v41, s14, -v31
	v_fmac_f32_e32 v31, 0x3d64c772, v33
	v_fma_f32 v33, v27, s12, -v44
	v_fmac_f32_e32 v44, 0x3eae86e6, v28
	v_fma_f32 v30, v30, s12, -v45
	v_fmac_f32_e32 v45, 0x3eae86e6, v29
	v_fma_f32 v35, v28, s15, -v46
	v_fma_f32 v40, v29, s15, -v47
	v_add_f32_e32 v39, v39, v42
	v_add_f32_e32 v41, v31, v43
	v_fmac_f32_e32 v44, 0x3ee1c552, v38
	v_fmac_f32_e32 v45, 0x3ee1c552, v26
	v_add_f32_e32 v31, v24, v42
	v_add_f32_e32 v46, v25, v43
	;; [unrolled: 1-line block ×4, first 2 shown]
	v_fmac_f32_e32 v33, 0x3ee1c552, v38
	v_fmac_f32_e32 v30, 0x3ee1c552, v26
	v_fmac_f32_e32 v35, 0x3ee1c552, v38
	v_fmac_f32_e32 v40, 0x3ee1c552, v26
	v_add_f32_e32 v24, v45, v39
	v_sub_f32_e32 v25, v41, v44
	v_add_f32_e32 v26, v40, v34
	v_sub_f32_e32 v27, v42, v35
	v_sub_f32_e32 v28, v31, v30
	v_add_f32_e32 v29, v33, v46
	v_add_f32_e32 v30, v30, v31
	v_sub_f32_e32 v31, v46, v33
	v_sub_f32_e32 v32, v34, v40
	v_add_f32_e32 v33, v35, v42
	v_sub_f32_e32 v34, v39, v45
	v_add_f32_e32 v35, v44, v41
	ds_write2_b64 v60, v[8:9], v[24:25] offset1:13
	ds_write2_b64 v60, v[26:27], v[28:29] offset0:26 offset1:39
	ds_write2_b64 v60, v[30:31], v[32:33] offset0:52 offset1:65
	ds_write_b64 v60, v[34:35] offset:624
	v_mad_u64_u32 v[8:9], s[2:3], v58, 48, s[2:3]
	s_waitcnt lgkmcnt(0)
	s_barrier
	global_load_dwordx4 v[32:35], v[8:9], off offset:624
	global_load_dwordx4 v[28:31], v[8:9], off offset:640
	;; [unrolled: 1-line block ×3, first 2 shown]
	ds_read2_b64 v[36:39], v57 offset1:91
	ds_read2_b64 v[40:43], v52 offset0:54 offset1:145
	ds_read2_b64 v[44:47], v51 offset0:108 offset1:199
	ds_read_b64 v[8:9], v57 offset:4368
	s_waitcnt vmcnt(2) lgkmcnt(3)
	v_mul_f32_e32 v53, v39, v33
	v_mul_f32_e32 v54, v38, v33
	s_waitcnt lgkmcnt(2)
	v_mul_f32_e32 v55, v41, v35
	s_waitcnt vmcnt(1)
	v_mul_f32_e32 v61, v43, v29
	s_waitcnt vmcnt(0) lgkmcnt(1)
	v_mul_f32_e32 v65, v47, v25
	s_waitcnt lgkmcnt(0)
	v_mul_f32_e32 v67, v9, v27
	v_mul_f32_e32 v56, v40, v35
	;; [unrolled: 1-line block ×6, first 2 shown]
	v_fma_f32 v38, v38, v32, -v53
	v_fmac_f32_e32 v54, v39, v32
	v_fma_f32 v39, v40, v34, -v55
	v_fma_f32 v40, v42, v28, -v61
	;; [unrolled: 1-line block ×4, first 2 shown]
	v_mul_f32_e32 v64, v44, v31
	v_fmac_f32_e32 v56, v41, v34
	v_fma_f32 v41, v44, v30, -v63
	v_fmac_f32_e32 v66, v47, v24
	v_fmac_f32_e32 v68, v9, v26
	v_add_f32_e32 v9, v38, v8
	v_add_f32_e32 v44, v39, v42
	v_fmac_f32_e32 v62, v43, v28
	v_fmac_f32_e32 v64, v45, v30
	v_add_f32_e32 v43, v54, v68
	v_add_f32_e32 v45, v56, v66
	;; [unrolled: 1-line block ×4, first 2 shown]
	v_sub_f32_e32 v8, v38, v8
	v_sub_f32_e32 v38, v54, v68
	v_add_f32_e32 v47, v62, v64
	v_add_f32_e32 v54, v45, v43
	v_sub_f32_e32 v55, v44, v9
	v_sub_f32_e32 v9, v9, v46
	;; [unrolled: 1-line block ×3, first 2 shown]
	v_add_f32_e32 v46, v46, v53
	v_sub_f32_e32 v39, v39, v42
	v_sub_f32_e32 v42, v56, v66
	;; [unrolled: 1-line block ×7, first 2 shown]
	v_add_f32_e32 v47, v47, v54
	v_add_f32_e32 v36, v36, v46
	;; [unrolled: 1-line block ×4, first 2 shown]
	v_sub_f32_e32 v63, v40, v39
	v_sub_f32_e32 v64, v41, v42
	;; [unrolled: 1-line block ×4, first 2 shown]
	v_add_f32_e32 v37, v37, v47
	v_mov_b32_e32 v65, v36
	v_sub_f32_e32 v40, v8, v40
	v_sub_f32_e32 v41, v38, v41
	v_add_f32_e32 v8, v61, v8
	v_add_f32_e32 v38, v62, v38
	v_mul_f32_e32 v9, 0x3f4a47b2, v9
	v_mul_f32_e32 v43, 0x3f4a47b2, v43
	;; [unrolled: 1-line block ×8, first 2 shown]
	v_fmac_f32_e32 v65, 0xbf955555, v46
	v_mov_b32_e32 v46, v37
	v_fmac_f32_e32 v46, 0xbf955555, v47
	v_fma_f32 v47, v55, s13, -v53
	v_fma_f32 v53, v56, s13, -v54
	;; [unrolled: 1-line block ×3, first 2 shown]
	v_fmac_f32_e32 v9, 0x3d64c772, v44
	v_fma_f32 v44, v56, s14, -v43
	v_fmac_f32_e32 v43, 0x3d64c772, v45
	v_fma_f32 v55, v39, s12, -v61
	v_fmac_f32_e32 v61, 0x3eae86e6, v40
	v_fma_f32 v42, v42, s12, -v62
	v_fmac_f32_e32 v62, 0x3eae86e6, v41
	v_fma_f32 v56, v40, s15, -v63
	v_fma_f32 v63, v41, s15, -v64
	v_add_f32_e32 v9, v9, v65
	v_add_f32_e32 v64, v43, v46
	;; [unrolled: 1-line block ×6, first 2 shown]
	v_fmac_f32_e32 v61, 0x3ee1c552, v8
	v_fmac_f32_e32 v62, 0x3ee1c552, v38
	v_fmac_f32_e32 v55, 0x3ee1c552, v8
	v_fmac_f32_e32 v42, 0x3ee1c552, v38
	v_fmac_f32_e32 v56, 0x3ee1c552, v8
	v_fmac_f32_e32 v63, 0x3ee1c552, v38
	v_add_f32_e32 v38, v62, v9
	v_sub_f32_e32 v39, v64, v61
	v_add_f32_e32 v44, v63, v43
	v_sub_f32_e32 v45, v53, v56
	v_sub_f32_e32 v46, v40, v42
	v_add_f32_e32 v47, v55, v41
	v_add_f32_e32 v40, v42, v40
	v_sub_f32_e32 v41, v41, v55
	v_sub_f32_e32 v42, v43, v63
	v_add_f32_e32 v43, v56, v53
	v_sub_f32_e32 v8, v9, v62
	v_add_f32_e32 v9, v61, v64
	ds_write2_b64 v57, v[36:37], v[38:39] offset1:91
	ds_write2_b64 v52, v[44:45], v[46:47] offset0:54 offset1:145
	ds_write2_b64 v51, v[40:41], v[42:43] offset0:108 offset1:199
	ds_write_b64 v57, v[8:9] offset:4368
	s_waitcnt lgkmcnt(0)
	s_barrier
	s_and_saveexec_b64 s[2:3], s[0:1]
	s_cbranch_execz .LBB0_9
; %bb.8:
	v_mov_b32_e32 v52, s9
	v_add_co_u32_e32 v56, vcc, s8, v57
	v_addc_co_u32_e32 v65, vcc, 0, v52, vcc
	v_add_co_u32_e32 v52, vcc, 0x13e8, v56
	v_addc_co_u32_e32 v53, vcc, 0, v65, vcc
	global_load_dwordx2 v[61:62], v[52:53], off offset:392
	v_add_co_u32_e32 v54, vcc, 0x1000, v56
	v_addc_co_u32_e32 v55, vcc, 0, v65, vcc
	global_load_dwordx2 v[63:64], v[54:55], off offset:1000
	global_load_dwordx2 v[77:78], v[52:53], off offset:784
	;; [unrolled: 1-line block ×4, first 2 shown]
	s_movk_i32 s12, 0x2000
	global_load_dwordx2 v[83:84], v[52:53], off offset:1960
	global_load_dwordx2 v[85:86], v[52:53], off offset:2352
	global_load_dwordx2 v[87:88], v[52:53], off offset:2744
	global_load_dwordx2 v[89:90], v[52:53], off offset:3136
	v_add_co_u32_e32 v54, vcc, s12, v56
	v_addc_co_u32_e32 v55, vcc, 0, v65, vcc
	global_load_dwordx2 v[91:92], v[52:53], off offset:3528
	global_load_dwordx2 v[93:94], v[54:55], off offset:1216
	global_load_dwordx2 v[95:96], v[52:53], off offset:3920
	global_load_dwordx2 v[97:98], v[54:55], off offset:1608
	ds_read2_b64 v[52:55], v57 offset1:49
	v_add_u32_e32 v103, 0xc00, v57
	s_waitcnt vmcnt(12) lgkmcnt(0)
	v_mul_f32_e32 v66, v55, v62
	v_mul_f32_e32 v65, v54, v62
	s_waitcnt vmcnt(11)
	v_mul_f32_e32 v62, v53, v64
	v_mul_f32_e32 v56, v52, v64
	v_fma_f32 v64, v54, v61, -v66
	v_fmac_f32_e32 v65, v55, v61
	v_fma_f32 v55, v52, v63, -v62
	v_fmac_f32_e32 v56, v53, v63
	ds_write2_b64 v57, v[55:56], v[64:65] offset1:49
	ds_read2_b64 v[52:55], v57 offset0:98 offset1:147
	ds_read2_b64 v[61:64], v57 offset0:196 offset1:245
	;; [unrolled: 1-line block ×5, first 2 shown]
	ds_read_b64 v[99:100], v57 offset:4704
	s_waitcnt vmcnt(10) lgkmcnt(5)
	v_mul_f32_e32 v101, v53, v78
	v_mul_f32_e32 v102, v52, v78
	s_waitcnt vmcnt(9)
	v_mul_f32_e32 v104, v55, v80
	v_mul_f32_e32 v78, v54, v80
	s_waitcnt vmcnt(8) lgkmcnt(4)
	v_mul_f32_e32 v105, v62, v82
	v_mul_f32_e32 v56, v61, v82
	s_waitcnt vmcnt(7)
	v_mul_f32_e32 v106, v64, v84
	v_mul_f32_e32 v80, v63, v84
	;; [unrolled: 6-line block ×4, first 2 shown]
	s_waitcnt vmcnt(1) lgkmcnt(1)
	v_mul_f32_e32 v111, v74, v96
	v_mul_f32_e32 v90, v73, v96
	;; [unrolled: 1-line block ×4, first 2 shown]
	v_fma_f32 v101, v52, v77, -v101
	v_fmac_f32_e32 v102, v53, v77
	v_fma_f32 v77, v54, v79, -v104
	v_fmac_f32_e32 v78, v55, v79
	;; [unrolled: 2-line block ×10, first 2 shown]
	ds_write2_b64 v57, v[101:102], v[77:78] offset0:98 offset1:147
	ds_write2_b64 v57, v[55:56], v[79:80] offset0:196 offset1:245
	;; [unrolled: 1-line block ×5, first 2 shown]
	s_waitcnt vmcnt(0) lgkmcnt(5)
	v_mul_f32_e32 v51, v100, v98
	v_mul_f32_e32 v52, v99, v98
	v_fma_f32 v51, v99, v97, -v51
	v_fmac_f32_e32 v52, v100, v97
	ds_write_b64 v57, v[51:52] offset:4704
.LBB0_9:
	s_or_b64 exec, exec, s[2:3]
	s_waitcnt lgkmcnt(0)
	s_barrier
	s_and_saveexec_b64 s[2:3], s[0:1]
	s_cbranch_execz .LBB0_11
; %bb.10:
	v_add_u32_e32 v0, 0x800, v57
	ds_read2_b64 v[36:39], v57 offset1:49
	ds_read2_b64 v[44:47], v57 offset0:98 offset1:147
	ds_read2_b64 v[40:43], v57 offset0:196 offset1:245
	;; [unrolled: 1-line block ×4, first 2 shown]
	v_add_u32_e32 v0, 0xc00, v57
	ds_read2_b64 v[0:3], v0 offset0:106 offset1:155
	ds_read_b64 v[49:50], v57 offset:4704
.LBB0_11:
	s_or_b64 exec, exec, s[2:3]
	s_waitcnt lgkmcnt(0)
	s_barrier
	s_and_saveexec_b64 s[2:3], s[0:1]
	s_cbranch_execz .LBB0_13
; %bb.12:
	v_add_f32_e32 v75, v50, v39
	v_mul_f32_e32 v76, 0xbf788fa5, v75
	v_add_f32_e32 v77, v3, v45
	v_sub_f32_e32 v61, v38, v49
	v_mov_b32_e32 v51, v76
	v_mul_f32_e32 v78, 0x3f62ad3f, v77
	v_fmac_f32_e32 v51, 0x3e750f2a, v61
	v_sub_f32_e32 v62, v44, v2
	v_mov_b32_e32 v52, v78
	v_add_f32_e32 v79, v1, v47
	v_add_f32_e32 v51, v37, v51
	v_fmac_f32_e32 v52, 0xbeedf032, v62
	v_mul_f32_e32 v80, 0xbf3f9e67, v79
	v_add_f32_e32 v51, v52, v51
	v_sub_f32_e32 v63, v46, v0
	v_mov_b32_e32 v52, v80
	v_add_f32_e32 v81, v7, v41
	v_fmac_f32_e32 v52, 0x3f29c268, v63
	v_mul_f32_e32 v82, 0x3f116cb1, v81
	v_add_f32_e32 v51, v52, v51
	v_sub_f32_e32 v64, v40, v6
	v_mov_b32_e32 v52, v82
	;; [unrolled: 6-line block ×4, first 2 shown]
	v_sub_f32_e32 v87, v39, v50
	v_fmac_f32_e32 v52, 0xbf7e222b, v66
	v_mul_f32_e32 v88, 0xbe750f2a, v87
	v_sub_f32_e32 v89, v45, v3
	v_add_f32_e32 v52, v52, v51
	v_add_f32_e32 v67, v49, v38
	v_mov_b32_e32 v51, v88
	v_mul_f32_e32 v90, 0x3eedf032, v89
	v_fmac_f32_e32 v51, 0xbf788fa5, v67
	v_add_f32_e32 v68, v2, v44
	v_mov_b32_e32 v53, v90
	v_sub_f32_e32 v91, v47, v1
	v_add_f32_e32 v51, v36, v51
	v_fmac_f32_e32 v53, 0x3f62ad3f, v68
	v_mul_f32_e32 v92, 0xbf29c268, v91
	v_add_f32_e32 v51, v53, v51
	v_add_f32_e32 v69, v0, v46
	v_mov_b32_e32 v53, v92
	v_sub_f32_e32 v93, v41, v7
	v_fmac_f32_e32 v53, 0xbf3f9e67, v69
	v_mul_f32_e32 v94, 0x3f52af12, v93
	v_add_f32_e32 v51, v53, v51
	v_add_f32_e32 v70, v6, v40
	v_mov_b32_e32 v53, v94
	v_sub_f32_e32 v95, v43, v5
	;; [unrolled: 6-line block ×3, first 2 shown]
	v_fmac_f32_e32 v53, 0xbeb58ec6, v71
	v_mul_f32_e32 v98, 0x3f7e222b, v97
	v_add_f32_e32 v51, v53, v51
	v_add_f32_e32 v72, v10, v8
	v_mov_b32_e32 v53, v98
	v_fmac_f32_e32 v53, 0x3df6dbef, v72
	v_mul_f32_e32 v99, 0xbf3f9e67, v75
	v_add_f32_e32 v51, v53, v51
	v_mov_b32_e32 v53, v99
	v_mul_f32_e32 v100, 0x3df6dbef, v77
	v_fmac_f32_e32 v53, 0x3f29c268, v61
	v_mov_b32_e32 v54, v100
	v_add_f32_e32 v53, v37, v53
	v_fmac_f32_e32 v54, 0xbf7e222b, v62
	v_mul_f32_e32 v101, 0x3f116cb1, v79
	v_add_f32_e32 v53, v54, v53
	v_mov_b32_e32 v54, v101
	v_fmac_f32_e32 v54, 0x3f52af12, v63
	v_mul_f32_e32 v102, 0xbf788fa5, v81
	v_add_f32_e32 v53, v54, v53
	v_mov_b32_e32 v54, v102
	v_fmac_f32_e32 v54, 0xbe750f2a, v64
	v_mul_f32_e32 v103, 0x3f62ad3f, v83
	v_add_f32_e32 v53, v54, v53
	v_mov_b32_e32 v54, v103
	v_fmac_f32_e32 v54, 0xbeedf032, v65
	v_mul_f32_e32 v104, 0xbeb58ec6, v85
	v_add_f32_e32 v53, v54, v53
	v_mov_b32_e32 v54, v104
	v_fmac_f32_e32 v54, 0x3f6f5d39, v66
	v_mul_f32_e32 v105, 0xbf29c268, v87
	v_add_f32_e32 v54, v54, v53
	v_mov_b32_e32 v53, v105
	v_mul_f32_e32 v106, 0x3f7e222b, v89
	v_fmac_f32_e32 v53, 0xbf3f9e67, v67
	v_mov_b32_e32 v55, v106
	v_add_f32_e32 v53, v36, v53
	v_fmac_f32_e32 v55, 0x3df6dbef, v68
	v_mul_f32_e32 v107, 0xbf52af12, v91
	v_add_f32_e32 v53, v55, v53
	v_mov_b32_e32 v55, v107
	v_fmac_f32_e32 v55, 0x3f116cb1, v69
	v_mul_f32_e32 v108, 0x3e750f2a, v93
	v_add_f32_e32 v53, v55, v53
	v_mov_b32_e32 v55, v108
	v_fmac_f32_e32 v55, 0xbf788fa5, v70
	v_mul_f32_e32 v109, 0x3eedf032, v95
	v_add_f32_e32 v53, v55, v53
	v_mov_b32_e32 v55, v109
	v_fmac_f32_e32 v55, 0x3f62ad3f, v71
	v_mul_f32_e32 v110, 0xbf6f5d39, v97
	;; [unrolled: 24-line block ×3, first 2 shown]
	v_add_f32_e32 v55, v56, v55
	v_mov_b32_e32 v56, v116
	v_fmac_f32_e32 v56, 0xbf52af12, v66
	v_mul_f32_e32 v117, 0xbf6f5d39, v87
	v_add_f32_e32 v56, v56, v55
	v_mov_b32_e32 v55, v117
	v_mul_f32_e32 v118, 0x3f29c268, v89
	v_fmac_f32_e32 v55, 0xbeb58ec6, v67
	v_mov_b32_e32 v73, v118
	v_add_f32_e32 v55, v36, v55
	v_fmac_f32_e32 v73, 0xbf3f9e67, v68
	v_mul_f32_e32 v119, 0x3eedf032, v91
	v_add_f32_e32 v39, v39, v37
	v_add_f32_e32 v55, v73, v55
	v_mov_b32_e32 v73, v119
	v_add_f32_e32 v39, v45, v39
	v_fmac_f32_e32 v73, 0x3f62ad3f, v69
	v_mul_f32_e32 v120, 0xbf7e222b, v93
	v_add_f32_e32 v45, v47, v39
	v_add_f32_e32 v55, v73, v55
	;; [unrolled: 6-line block ×3, first 2 shown]
	v_mov_b32_e32 v73, v121
	v_add_f32_e32 v38, v38, v36
	v_add_f32_e32 v9, v9, v43
	v_fmac_f32_e32 v73, 0xbf788fa5, v71
	v_mul_f32_e32 v122, 0x3f52af12, v97
	v_add_f32_e32 v38, v44, v38
	v_add_f32_e32 v9, v11, v9
	;; [unrolled: 1-line block ×3, first 2 shown]
	v_mov_b32_e32 v73, v122
	v_add_f32_e32 v38, v46, v38
	v_add_f32_e32 v5, v5, v9
	v_fmac_f32_e32 v73, 0x3f116cb1, v72
	v_mul_f32_e32 v123, 0x3df6dbef, v75
	v_add_f32_e32 v38, v40, v38
	v_add_f32_e32 v5, v7, v5
	;; [unrolled: 1-line block ×3, first 2 shown]
	v_mov_b32_e32 v73, v123
	v_mul_f32_e32 v124, 0xbf788fa5, v77
	v_add_f32_e32 v42, v42, v38
	v_add_f32_e32 v1, v1, v5
	v_fmac_f32_e32 v73, 0x3f7e222b, v61
	v_mov_b32_e32 v74, v124
	v_add_f32_e32 v1, v3, v1
	v_add_f32_e32 v3, v8, v42
	;; [unrolled: 1-line block ×3, first 2 shown]
	v_fmac_f32_e32 v74, 0x3e750f2a, v62
	v_mul_f32_e32 v125, 0xbeb58ec6, v79
	v_add_f32_e32 v3, v10, v3
	v_add_f32_e32 v73, v74, v73
	v_mov_b32_e32 v74, v125
	v_add_f32_e32 v3, v4, v3
	v_fmac_f32_e32 v74, 0xbf6f5d39, v63
	v_mul_f32_e32 v126, 0x3f62ad3f, v81
	v_add_f32_e32 v3, v6, v3
	v_add_f32_e32 v73, v74, v73
	v_mov_b32_e32 v74, v126
	v_add_f32_e32 v0, v0, v3
	v_fmac_f32_e32 v76, 0xbe750f2a, v61
	v_fmac_f32_e32 v74, 0xbeedf032, v64
	v_mul_f32_e32 v127, 0x3f116cb1, v83
	v_add_f32_e32 v0, v2, v0
	v_add_f32_e32 v2, v37, v76
	v_fmac_f32_e32 v78, 0x3eedf032, v62
	v_add_f32_e32 v73, v74, v73
	v_mov_b32_e32 v74, v127
	v_add_f32_e32 v2, v78, v2
	v_fmac_f32_e32 v80, 0xbf29c268, v63
	v_fmac_f32_e32 v74, 0x3f52af12, v65
	v_mul_f32_e32 v128, 0xbf3f9e67, v85
	v_add_f32_e32 v2, v80, v2
	v_fmac_f32_e32 v82, 0x3f52af12, v64
	v_add_f32_e32 v73, v74, v73
	v_mov_b32_e32 v74, v128
	v_add_f32_e32 v2, v82, v2
	v_fmac_f32_e32 v84, 0xbf6f5d39, v65
	v_fmac_f32_e32 v74, 0x3f29c268, v66
	v_mul_f32_e32 v129, 0xbf7e222b, v87
	s_mov_b32 s12, 0xbf788fa5
	v_add_f32_e32 v2, v84, v2
	v_fmac_f32_e32 v86, 0x3f7e222b, v66
	v_add_f32_e32 v74, v74, v73
	v_mov_b32_e32 v73, v129
	v_mul_f32_e32 v130, 0xbe750f2a, v89
	s_mov_b32 s14, 0x3f62ad3f
	v_add_f32_e32 v3, v86, v2
	v_fma_f32 v2, v67, s12, -v88
	v_fmac_f32_e32 v73, 0x3df6dbef, v67
	v_mov_b32_e32 v131, v130
	s_mov_b32 s13, 0xbf3f9e67
	v_add_f32_e32 v2, v36, v2
	v_fma_f32 v4, v68, s14, -v90
	v_add_f32_e32 v73, v36, v73
	v_fmac_f32_e32 v131, 0xbf788fa5, v68
	s_mov_b32 s15, 0x3f116cb1
	v_add_f32_e32 v2, v4, v2
	v_fma_f32 v4, v69, s13, -v92
	v_add_f32_e32 v73, v131, v73
	v_mul_f32_e32 v131, 0x3f6f5d39, v91
	s_mov_b32 s16, 0xbeb58ec6
	v_add_f32_e32 v2, v4, v2
	v_fma_f32 v4, v70, s15, -v94
	v_mov_b32_e32 v132, v131
	s_mov_b32 s17, 0x3df6dbef
	v_add_f32_e32 v2, v4, v2
	v_fma_f32 v4, v71, s16, -v96
	v_fmac_f32_e32 v132, 0xbeb58ec6, v69
	v_add_f32_e32 v2, v4, v2
	v_fma_f32 v4, v72, s17, -v98
	v_fmac_f32_e32 v99, 0xbf29c268, v61
	v_add_f32_e32 v73, v132, v73
	v_mul_f32_e32 v132, 0x3eedf032, v93
	v_add_f32_e32 v2, v4, v2
	v_add_f32_e32 v4, v37, v99
	v_fmac_f32_e32 v100, 0x3f7e222b, v62
	v_mov_b32_e32 v133, v132
	v_add_f32_e32 v4, v100, v4
	v_fmac_f32_e32 v101, 0xbf52af12, v63
	v_fmac_f32_e32 v133, 0x3f62ad3f, v70
	v_add_f32_e32 v4, v101, v4
	v_fmac_f32_e32 v102, 0x3e750f2a, v64
	v_add_f32_e32 v73, v133, v73
	v_mul_f32_e32 v133, 0xbf52af12, v95
	v_add_f32_e32 v4, v102, v4
	v_fmac_f32_e32 v103, 0x3eedf032, v65
	v_mov_b32_e32 v134, v133
	v_add_f32_e32 v4, v103, v4
	v_fmac_f32_e32 v104, 0xbf6f5d39, v66
	v_fmac_f32_e32 v134, 0x3f116cb1, v71
	v_add_f32_e32 v5, v104, v4
	v_fma_f32 v4, v67, s13, -v105
	v_add_f32_e32 v73, v134, v73
	v_mul_f32_e32 v134, 0xbf29c268, v97
	v_add_f32_e32 v4, v36, v4
	v_fma_f32 v6, v68, s17, -v106
	v_mov_b32_e32 v135, v134
	v_add_f32_e32 v4, v6, v4
	v_fma_f32 v6, v69, s15, -v107
	v_fmac_f32_e32 v135, 0xbf3f9e67, v72
	v_add_f32_e32 v4, v6, v4
	v_fma_f32 v6, v70, s12, -v108
	v_add_f32_e32 v73, v135, v73
	v_mul_f32_e32 v135, 0x3f116cb1, v75
	v_add_f32_e32 v4, v6, v4
	v_fma_f32 v6, v71, s14, -v109
	v_mov_b32_e32 v136, v135
	v_mul_f32_e32 v137, 0xbeb58ec6, v77
	v_add_f32_e32 v4, v6, v4
	v_fma_f32 v6, v72, s16, -v110
	v_fmac_f32_e32 v111, 0xbf6f5d39, v61
	v_fmac_f32_e32 v136, 0x3f52af12, v61
	v_mov_b32_e32 v138, v137
	v_add_f32_e32 v4, v6, v4
	v_add_f32_e32 v6, v37, v111
	v_fmac_f32_e32 v112, 0x3f29c268, v62
	v_add_f32_e32 v136, v37, v136
	v_fmac_f32_e32 v138, 0x3f6f5d39, v62
	;; [unrolled: 2-line block ×3, first 2 shown]
	v_add_f32_e32 v136, v138, v136
	v_mul_f32_e32 v138, 0xbf788fa5, v79
	v_add_f32_e32 v6, v113, v6
	v_fmac_f32_e32 v114, 0xbf7e222b, v64
	v_mov_b32_e32 v139, v138
	v_add_f32_e32 v6, v114, v6
	v_fmac_f32_e32 v115, 0x3e750f2a, v65
	v_fmac_f32_e32 v139, 0x3e750f2a, v63
	v_mul_f32_e32 v142, 0xbf52af12, v87
	v_add_f32_e32 v6, v115, v6
	v_fmac_f32_e32 v116, 0x3f52af12, v66
	v_add_f32_e32 v136, v139, v136
	v_mul_f32_e32 v139, 0xbf3f9e67, v81
	v_mov_b32_e32 v39, v142
	v_mul_f32_e32 v44, 0xbf6f5d39, v89
	v_add_f32_e32 v7, v116, v6
	v_fma_f32 v6, v67, s16, -v117
	v_mov_b32_e32 v140, v139
	v_fmac_f32_e32 v39, 0x3f116cb1, v67
	v_mov_b32_e32 v46, v44
	v_add_f32_e32 v6, v36, v6
	v_fma_f32 v8, v68, s13, -v118
	v_fmac_f32_e32 v140, 0xbf29c268, v64
	v_add_f32_e32 v39, v36, v39
	v_fmac_f32_e32 v46, 0xbeb58ec6, v68
	v_add_f32_e32 v6, v8, v6
	v_fma_f32 v8, v69, s14, -v119
	v_add_f32_e32 v136, v140, v136
	v_mul_f32_e32 v140, 0x3df6dbef, v83
	v_add_f32_e32 v39, v46, v39
	v_mul_f32_e32 v46, 0xbe750f2a, v91
	v_add_f32_e32 v6, v8, v6
	v_fma_f32 v8, v70, s17, -v120
	v_mov_b32_e32 v141, v140
	v_mov_b32_e32 v47, v46
	v_mul_f32_e32 v45, 0x3f29c268, v93
	v_add_f32_e32 v6, v8, v6
	v_fma_f32 v8, v71, s12, -v121
	v_fmac_f32_e32 v141, 0xbf7e222b, v65
	v_fmac_f32_e32 v47, 0xbf788fa5, v69
	v_mov_b32_e32 v38, v45
	v_add_f32_e32 v6, v8, v6
	v_fma_f32 v8, v72, s15, -v122
	v_fmac_f32_e32 v123, 0xbf7e222b, v61
	v_add_f32_e32 v136, v141, v136
	v_mul_f32_e32 v141, 0x3f62ad3f, v85
	v_add_f32_e32 v47, v47, v39
	v_fmac_f32_e32 v38, 0xbf3f9e67, v70
	v_add_f32_e32 v6, v8, v6
	v_add_f32_e32 v8, v37, v123
	v_fmac_f32_e32 v124, 0xbe750f2a, v62
	v_mov_b32_e32 v39, v141
	v_add_f32_e32 v38, v38, v47
	v_mul_f32_e32 v47, 0x3f7e222b, v95
	v_add_f32_e32 v8, v124, v8
	v_fmac_f32_e32 v125, 0x3f6f5d39, v63
	v_fmac_f32_e32 v39, 0xbeedf032, v66
	v_mov_b32_e32 v40, v47
	v_add_f32_e32 v8, v125, v8
	v_fmac_f32_e32 v126, 0x3eedf032, v64
	v_add_f32_e32 v39, v39, v136
	v_fmac_f32_e32 v40, 0x3df6dbef, v71
	v_mul_f32_e32 v136, 0x3eedf032, v97
	v_add_f32_e32 v8, v126, v8
	v_fmac_f32_e32 v127, 0xbf52af12, v65
	v_add_f32_e32 v38, v40, v38
	v_mov_b32_e32 v40, v136
	v_add_f32_e32 v8, v127, v8
	v_fmac_f32_e32 v128, 0xbf29c268, v66
	v_fmac_f32_e32 v40, 0x3f62ad3f, v72
	v_mul_f32_e32 v75, 0x3f62ad3f, v75
	v_add_f32_e32 v9, v128, v8
	v_fma_f32 v8, v67, s17, -v129
	v_add_f32_e32 v38, v40, v38
	v_mov_b32_e32 v40, v75
	v_mul_f32_e32 v77, 0x3f116cb1, v77
	v_add_f32_e32 v8, v36, v8
	v_fma_f32 v10, v68, s12, -v130
	v_fmac_f32_e32 v40, 0x3eedf032, v61
	v_mov_b32_e32 v41, v77
	v_add_f32_e32 v8, v10, v8
	v_fma_f32 v10, v69, s16, -v131
	v_add_f32_e32 v40, v37, v40
	v_fmac_f32_e32 v41, 0x3f52af12, v62
	v_mul_f32_e32 v79, 0x3df6dbef, v79
	v_add_f32_e32 v8, v10, v8
	v_fma_f32 v10, v70, s14, -v132
	v_add_f32_e32 v40, v41, v40
	v_mov_b32_e32 v41, v79
	v_add_f32_e32 v8, v10, v8
	v_fma_f32 v10, v71, s15, -v133
	v_fmac_f32_e32 v41, 0x3f7e222b, v63
	v_mul_f32_e32 v81, 0xbeb58ec6, v81
	v_add_f32_e32 v8, v10, v8
	v_fma_f32 v10, v72, s13, -v134
	v_fmac_f32_e32 v135, 0xbf52af12, v61
	v_add_f32_e32 v40, v41, v40
	v_mov_b32_e32 v41, v81
	v_add_f32_e32 v8, v10, v8
	v_add_f32_e32 v10, v37, v135
	v_fmac_f32_e32 v137, 0xbf6f5d39, v62
	v_fmac_f32_e32 v41, 0x3f6f5d39, v64
	v_mul_f32_e32 v83, 0xbf3f9e67, v83
	v_add_f32_e32 v10, v137, v10
	v_fmac_f32_e32 v138, 0xbe750f2a, v63
	v_add_f32_e32 v40, v41, v40
	v_mov_b32_e32 v41, v83
	v_add_f32_e32 v10, v138, v10
	v_fmac_f32_e32 v139, 0x3f29c268, v64
	v_fmac_f32_e32 v41, 0x3f29c268, v65
	v_mul_f32_e32 v87, 0xbeedf032, v87
	v_add_f32_e32 v10, v139, v10
	v_fmac_f32_e32 v140, 0x3f7e222b, v65
	v_add_f32_e32 v40, v41, v40
	v_mov_b32_e32 v41, v87
	v_mul_f32_e32 v89, 0xbf52af12, v89
	v_add_f32_e32 v10, v140, v10
	v_fmac_f32_e32 v141, 0x3eedf032, v66
	v_fmac_f32_e32 v41, 0x3f62ad3f, v67
	v_mov_b32_e32 v143, v89
	v_add_f32_e32 v11, v141, v10
	v_fma_f32 v10, v67, s15, -v142
	v_add_f32_e32 v41, v36, v41
	v_fmac_f32_e32 v143, 0x3f116cb1, v68
	v_mul_f32_e32 v91, 0xbf7e222b, v91
	v_add_f32_e32 v10, v36, v10
	v_fma_f32 v42, v68, s16, -v44
	v_add_f32_e32 v41, v143, v41
	v_mov_b32_e32 v143, v91
	v_add_f32_e32 v10, v42, v10
	v_fma_f32 v42, v69, s12, -v46
	v_fmac_f32_e32 v143, 0x3df6dbef, v69
	v_mul_f32_e32 v93, 0xbf6f5d39, v93
	v_add_f32_e32 v10, v42, v10
	v_fma_f32 v42, v70, s13, -v45
	v_add_f32_e32 v41, v143, v41
	v_mov_b32_e32 v143, v93
	v_add_f32_e32 v10, v42, v10
	v_fma_f32 v42, v71, s17, -v47
	;; [unrolled: 8-line block ×3, first 2 shown]
	v_fmac_f32_e32 v143, 0xbf3f9e67, v71
	v_mul_f32_e32 v85, 0xbf788fa5, v85
	v_fmac_f32_e32 v75, 0xbeedf032, v61
	v_add_f32_e32 v36, v36, v42
	v_fma_f32 v42, v68, s15, -v89
	v_add_f32_e32 v143, v143, v41
	v_mov_b32_e32 v41, v85
	v_add_f32_e32 v37, v37, v75
	v_fmac_f32_e32 v77, 0xbf52af12, v62
	v_add_f32_e32 v36, v42, v36
	v_fma_f32 v42, v69, s17, -v91
	v_fmac_f32_e32 v41, 0x3e750f2a, v66
	v_mul_f32_e32 v97, 0xbe750f2a, v97
	v_add_f32_e32 v37, v77, v37
	v_fmac_f32_e32 v79, 0xbf7e222b, v63
	v_add_f32_e32 v36, v42, v36
	v_fma_f32 v42, v70, s16, -v93
	v_add_f32_e32 v41, v41, v40
	v_mov_b32_e32 v40, v97
	v_add_f32_e32 v37, v79, v37
	v_fmac_f32_e32 v81, 0xbf6f5d39, v64
	v_add_f32_e32 v36, v42, v36
	v_fma_f32 v42, v71, s13, -v95
	v_fmac_f32_e32 v40, 0xbf788fa5, v72
	v_add_f32_e32 v37, v81, v37
	v_fmac_f32_e32 v83, 0xbf29c268, v65
	v_add_f32_e32 v36, v42, v36
	v_fma_f32 v42, v72, s12, -v97
	v_add_f32_e32 v40, v40, v143
	v_add_f32_e32 v1, v50, v1
	v_add_f32_e32 v0, v49, v0
	v_add_f32_e32 v37, v83, v37
	v_fmac_f32_e32 v85, 0xbe750f2a, v66
	v_add_f32_e32 v36, v42, v36
	v_lshlrev_b32_e32 v42, 3, v59
	v_add_f32_e32 v37, v85, v37
	ds_write2_b64 v42, v[0:1], v[40:41] offset1:1
	ds_write2_b64 v42, v[38:39], v[73:74] offset0:2 offset1:3
	ds_write2_b64 v42, v[55:56], v[53:54] offset0:4 offset1:5
	;; [unrolled: 1-line block ×5, first 2 shown]
	ds_write_b64 v42, v[36:37] offset:96
.LBB0_13:
	s_or_b64 exec, exec, s[2:3]
	s_waitcnt lgkmcnt(0)
	s_barrier
	ds_read2_b64 v[2:5], v57 offset1:91
	v_add_u32_e32 v1, 0x400, v57
	ds_read2_b64 v[6:9], v1 offset0:54 offset1:145
	v_add_u32_e32 v0, 0x800, v57
	ds_read2_b64 v[36:39], v0 offset0:108 offset1:199
	ds_read_b64 v[10:11], v57 offset:4368
	s_waitcnt lgkmcnt(3)
	v_mul_f32_e32 v40, v21, v5
	v_fmac_f32_e32 v40, v20, v4
	v_mul_f32_e32 v4, v21, v4
	v_fma_f32 v4, v20, v5, -v4
	s_waitcnt lgkmcnt(2)
	v_mul_f32_e32 v5, v23, v7
	v_fmac_f32_e32 v5, v22, v6
	v_mul_f32_e32 v6, v23, v6
	v_fma_f32 v6, v22, v7, -v6
	v_mul_f32_e32 v7, v17, v9
	v_fmac_f32_e32 v7, v16, v8
	v_mul_f32_e32 v8, v17, v8
	s_waitcnt lgkmcnt(1)
	v_mul_f32_e32 v17, v13, v39
	v_mul_f32_e32 v13, v13, v38
	v_fmac_f32_e32 v17, v12, v38
	v_fma_f32 v12, v12, v39, -v13
	s_waitcnt lgkmcnt(0)
	v_mul_f32_e32 v13, v15, v11
	v_fmac_f32_e32 v13, v14, v10
	v_mul_f32_e32 v10, v15, v10
	v_fma_f32 v8, v16, v9, -v8
	v_mul_f32_e32 v9, v19, v37
	v_fma_f32 v10, v14, v11, -v10
	v_fmac_f32_e32 v9, v18, v36
	v_mul_f32_e32 v16, v19, v36
	v_add_f32_e32 v11, v40, v13
	v_add_f32_e32 v14, v4, v10
	v_sub_f32_e32 v4, v4, v10
	v_add_f32_e32 v10, v5, v17
	v_fma_f32 v16, v18, v37, -v16
	v_add_f32_e32 v15, v6, v12
	v_sub_f32_e32 v6, v6, v12
	v_add_f32_e32 v12, v7, v9
	v_sub_f32_e32 v7, v9, v7
	v_add_f32_e32 v9, v10, v11
	v_sub_f32_e32 v5, v5, v17
	v_add_f32_e32 v17, v8, v16
	v_sub_f32_e32 v8, v16, v8
	v_add_f32_e32 v16, v15, v14
	v_add_f32_e32 v9, v12, v9
	v_sub_f32_e32 v13, v40, v13
	v_sub_f32_e32 v18, v10, v11
	;; [unrolled: 1-line block ×4, first 2 shown]
	v_add_f32_e32 v12, v17, v16
	v_add_f32_e32 v2, v2, v9
	v_sub_f32_e32 v19, v15, v14
	v_sub_f32_e32 v14, v14, v17
	;; [unrolled: 1-line block ×3, first 2 shown]
	v_add_f32_e32 v20, v7, v5
	v_add_f32_e32 v21, v8, v6
	v_sub_f32_e32 v22, v7, v5
	v_sub_f32_e32 v23, v8, v6
	;; [unrolled: 1-line block ×4, first 2 shown]
	v_add_f32_e32 v3, v3, v12
	v_mov_b32_e32 v36, v2
	v_sub_f32_e32 v7, v13, v7
	v_sub_f32_e32 v8, v4, v8
	v_add_f32_e32 v13, v20, v13
	v_add_f32_e32 v4, v21, v4
	v_mul_f32_e32 v11, 0x3f4a47b2, v11
	v_mul_f32_e32 v14, 0x3f4a47b2, v14
	v_mul_f32_e32 v16, 0x3d64c772, v10
	v_mul_f32_e32 v17, 0x3d64c772, v15
	v_mul_f32_e32 v20, 0x3f08b237, v22
	v_mul_f32_e32 v21, 0x3f08b237, v23
	s_mov_b32 s2, 0xbf5ff5aa
	v_mul_f32_e32 v22, 0xbf5ff5aa, v5
	v_mul_f32_e32 v23, 0xbf5ff5aa, v6
	v_fmac_f32_e32 v36, 0xbf955555, v9
	v_mov_b32_e32 v9, v3
	s_mov_b32 s3, 0x3f3bfb3b
	s_mov_b32 s12, 0xbf3bfb3b
	;; [unrolled: 1-line block ×3, first 2 shown]
	v_fmac_f32_e32 v9, 0xbf955555, v12
	v_fma_f32 v12, v18, s3, -v16
	v_fma_f32 v16, v19, s3, -v17
	;; [unrolled: 1-line block ×3, first 2 shown]
	v_fmac_f32_e32 v11, 0x3d64c772, v10
	v_fma_f32 v10, v19, s12, -v14
	v_fmac_f32_e32 v14, 0x3d64c772, v15
	v_fma_f32 v15, v5, s2, -v20
	;; [unrolled: 2-line block ×4, first 2 shown]
	v_fma_f32 v22, v8, s13, -v23
	v_add_f32_e32 v23, v11, v36
	v_add_f32_e32 v37, v14, v9
	v_add_f32_e32 v11, v12, v36
	v_add_f32_e32 v12, v16, v9
	v_add_f32_e32 v14, v17, v36
	v_add_f32_e32 v16, v10, v9
	v_fmac_f32_e32 v20, 0xbee1c552, v13
	v_fmac_f32_e32 v21, 0xbee1c552, v4
	;; [unrolled: 1-line block ×6, first 2 shown]
	v_add_f32_e32 v4, v21, v23
	v_sub_f32_e32 v5, v37, v20
	v_add_f32_e32 v6, v22, v14
	v_sub_f32_e32 v7, v16, v19
	v_sub_f32_e32 v8, v11, v18
	v_add_f32_e32 v9, v15, v12
	v_add_f32_e32 v10, v18, v11
	v_sub_f32_e32 v11, v12, v15
	v_sub_f32_e32 v12, v14, v22
	v_add_f32_e32 v13, v19, v16
	v_sub_f32_e32 v14, v23, v21
	v_add_f32_e32 v15, v20, v37
	s_barrier
	ds_write2_b64 v60, v[2:3], v[4:5] offset1:13
	ds_write2_b64 v60, v[6:7], v[8:9] offset0:26 offset1:39
	ds_write2_b64 v60, v[10:11], v[12:13] offset0:52 offset1:65
	ds_write_b64 v60, v[14:15] offset:624
	s_waitcnt lgkmcnt(0)
	s_barrier
	ds_read2_b64 v[2:5], v57 offset1:91
	ds_read2_b64 v[6:9], v1 offset0:54 offset1:145
	ds_read2_b64 v[10:13], v0 offset0:108 offset1:199
	ds_read_b64 v[14:15], v57 offset:4368
	s_waitcnt lgkmcnt(3)
	v_mul_f32_e32 v16, v33, v5
	v_fmac_f32_e32 v16, v32, v4
	v_mul_f32_e32 v4, v33, v4
	v_fma_f32 v4, v32, v5, -v4
	s_waitcnt lgkmcnt(2)
	v_mul_f32_e32 v5, v35, v7
	v_fmac_f32_e32 v5, v34, v6
	v_mul_f32_e32 v6, v35, v6
	v_fma_f32 v6, v34, v7, -v6
	v_mul_f32_e32 v7, v29, v9
	v_fmac_f32_e32 v7, v28, v8
	v_mul_f32_e32 v8, v29, v8
	v_fma_f32 v8, v28, v9, -v8
	s_waitcnt lgkmcnt(1)
	v_mul_f32_e32 v9, v31, v11
	v_fmac_f32_e32 v9, v30, v10
	v_mul_f32_e32 v10, v31, v10
	v_fma_f32 v10, v30, v11, -v10
	;; [unrolled: 9-line block ×3, first 2 shown]
	v_add_f32_e32 v15, v16, v13
	v_add_f32_e32 v17, v4, v14
	v_sub_f32_e32 v4, v4, v14
	v_add_f32_e32 v14, v5, v11
	v_sub_f32_e32 v13, v16, v13
	;; [unrolled: 2-line block ×6, first 2 shown]
	v_add_f32_e32 v10, v16, v17
	v_add_f32_e32 v9, v11, v9
	;; [unrolled: 1-line block ×4, first 2 shown]
	v_sub_f32_e32 v18, v14, v15
	v_sub_f32_e32 v19, v16, v17
	;; [unrolled: 1-line block ×6, first 2 shown]
	v_add_f32_e32 v20, v7, v5
	v_add_f32_e32 v21, v8, v6
	v_sub_f32_e32 v22, v7, v5
	v_sub_f32_e32 v23, v8, v6
	v_add_f32_e32 v3, v3, v10
	v_mov_b32_e32 v24, v2
	v_sub_f32_e32 v7, v13, v7
	v_sub_f32_e32 v8, v4, v8
	;; [unrolled: 1-line block ×4, first 2 shown]
	v_add_f32_e32 v11, v20, v13
	v_add_f32_e32 v4, v21, v4
	v_mul_f32_e32 v12, 0x3f4a47b2, v15
	v_mul_f32_e32 v13, 0x3f4a47b2, v17
	;; [unrolled: 1-line block ×6, first 2 shown]
	v_fmac_f32_e32 v24, 0xbf955555, v9
	v_mov_b32_e32 v9, v3
	v_mul_f32_e32 v22, 0xbf5ff5aa, v5
	v_mul_f32_e32 v23, 0xbf5ff5aa, v6
	v_fmac_f32_e32 v9, 0xbf955555, v10
	v_fma_f32 v10, v18, s3, -v15
	v_fma_f32 v15, v19, s3, -v17
	;; [unrolled: 1-line block ×3, first 2 shown]
	v_fmac_f32_e32 v12, 0x3d64c772, v14
	v_fma_f32 v14, v19, s12, -v13
	v_fmac_f32_e32 v13, 0x3d64c772, v16
	v_fma_f32 v16, v5, s2, -v20
	;; [unrolled: 2-line block ×4, first 2 shown]
	v_fma_f32 v22, v8, s13, -v23
	v_add_f32_e32 v23, v12, v24
	v_add_f32_e32 v25, v13, v9
	v_fmac_f32_e32 v20, 0xbee1c552, v11
	v_fmac_f32_e32 v21, 0xbee1c552, v4
	v_add_f32_e32 v10, v10, v24
	v_add_f32_e32 v12, v15, v9
	;; [unrolled: 1-line block ×4, first 2 shown]
	v_fmac_f32_e32 v16, 0xbee1c552, v11
	v_fmac_f32_e32 v18, 0xbee1c552, v4
	;; [unrolled: 1-line block ×4, first 2 shown]
	v_add_f32_e32 v4, v21, v23
	v_sub_f32_e32 v5, v25, v20
	v_add_f32_e32 v6, v22, v13
	v_sub_f32_e32 v7, v14, v19
	v_sub_f32_e32 v8, v10, v18
	v_add_f32_e32 v9, v16, v12
	v_add_f32_e32 v10, v18, v10
	v_sub_f32_e32 v11, v12, v16
	v_sub_f32_e32 v12, v13, v22
	v_add_f32_e32 v13, v19, v14
	v_sub_f32_e32 v14, v23, v21
	v_add_f32_e32 v15, v20, v25
	ds_write2_b64 v57, v[2:3], v[4:5] offset1:91
	ds_write2_b64 v1, v[6:7], v[8:9] offset0:54 offset1:145
	ds_write2_b64 v0, v[10:11], v[12:13] offset0:108 offset1:199
	ds_write_b64 v57, v[14:15] offset:4368
	s_waitcnt lgkmcnt(0)
	s_barrier
	s_and_b64 exec, exec, s[0:1]
	s_cbranch_execz .LBB0_15
; %bb.14:
	global_load_dwordx2 v[10:11], v57, s[8:9]
	global_load_dwordx2 v[12:13], v57, s[8:9] offset:392
	global_load_dwordx2 v[14:15], v57, s[8:9] offset:784
	;; [unrolled: 1-line block ×4, first 2 shown]
	ds_read_b64 v[20:21], v57
	ds_read2_b64 v[2:5], v57 offset0:49 offset1:98
	ds_read2_b64 v[6:9], v57 offset0:147 offset1:196
	global_load_dwordx2 v[26:27], v57, s[8:9] offset:1960
	global_load_dwordx2 v[28:29], v57, s[8:9] offset:2352
	v_mad_u64_u32 v[22:23], s[0:1], s6, v48, 0
	v_mad_u64_u32 v[24:25], s[2:3], s4, v58, 0
	v_mov_b32_e32 v30, s9
	s_mul_i32 s3, s5, 0x188
	s_mul_hi_u32 s6, s4, 0x188
	v_add_co_u32_e32 v34, vcc, s8, v57
	v_addc_co_u32_e32 v35, vcc, 0, v30, vcc
	s_add_i32 s3, s6, s3
	v_mad_u64_u32 v[30:31], s[6:7], s7, v48, v[23:24]
	s_mul_i32 s2, s4, 0x188
	v_mov_b32_e32 v33, s11
	v_mov_b32_e32 v23, v30
	v_lshlrev_b64 v[22:23], 3, v[22:23]
	v_mov_b32_e32 v36, s3
	v_add_co_u32_e32 v22, vcc, s10, v22
	v_addc_co_u32_e32 v23, vcc, v33, v23, vcc
	s_mov_b32 s0, 0xf5262dd1
	s_mov_b32 s1, 0x3f59b876
	s_waitcnt vmcnt(5) lgkmcnt(1)
	v_mul_f32_e32 v33, v3, v13
	v_mul_f32_e32 v13, v2, v13
	v_fmac_f32_e32 v33, v2, v12
	s_waitcnt vmcnt(3) lgkmcnt(0)
	v_mul_f32_e32 v37, v7, v17
	v_mul_f32_e32 v17, v6, v17
	v_fmac_f32_e32 v37, v6, v16
	s_waitcnt vmcnt(1)
	v_mad_u64_u32 v[31:32], s[4:5], s5, v58, v[25:26]
	v_mov_b32_e32 v32, s3
	v_fma_f32 v39, v16, v7, -v17
	v_mov_b32_e32 v25, v31
	v_lshlrev_b64 v[24:25], 3, v[24:25]
	v_cvt_f64_f32_e32 v[6:7], v33
	v_add_co_u32_e32 v22, vcc, v22, v24
	v_addc_co_u32_e32 v23, vcc, v23, v25, vcc
	v_add_co_u32_e32 v24, vcc, s2, v22
	v_addc_co_u32_e32 v25, vcc, v23, v32, vcc
	v_mul_f32_e32 v32, v21, v11
	v_mul_f32_e32 v11, v20, v11
	v_fmac_f32_e32 v32, v20, v10
	v_fma_f32 v10, v10, v21, -v11
	v_fma_f32 v11, v12, v3, -v13
	global_load_dwordx2 v[12:13], v57, s[8:9] offset:2744
	v_add_co_u32_e32 v30, vcc, s2, v24
	v_addc_co_u32_e32 v31, vcc, v25, v36, vcc
	v_mul_f32_e32 v36, v5, v15
	v_mul_f32_e32 v15, v4, v15
	v_fmac_f32_e32 v36, v4, v14
	v_fma_f32 v20, v14, v5, -v15
	v_cvt_f64_f32_e32 v[2:3], v32
	v_cvt_f64_f32_e32 v[4:5], v10
	;; [unrolled: 1-line block ×5, first 2 shown]
	v_mul_f64 v[2:3], v[2:3], s[0:1]
	v_mul_f64 v[4:5], v[4:5], s[0:1]
	;; [unrolled: 1-line block ×6, first 2 shown]
	v_cvt_f64_f32_e32 v[20:21], v37
	v_cvt_f64_f32_e32 v[32:33], v39
	v_cvt_f32_f64_e32 v2, v[2:3]
	v_cvt_f32_f64_e32 v3, v[4:5]
	;; [unrolled: 1-line block ×3, first 2 shown]
	global_load_dwordx2 v[10:11], v57, s[8:9] offset:3136
	v_cvt_f32_f64_e32 v4, v[6:7]
	v_mul_f32_e32 v38, v9, v19
	v_mul_f64 v[20:21], v[20:21], s[0:1]
	v_mul_f64 v[32:33], v[32:33], s[0:1]
	v_cvt_f32_f64_e32 v6, v[14:15]
	v_cvt_f32_f64_e32 v7, v[16:17]
	v_fmac_f32_e32 v38, v8, v18
	global_store_dwordx2 v[22:23], v[2:3], off
	global_store_dwordx2 v[24:25], v[4:5], off
	;; [unrolled: 1-line block ×3, first 2 shown]
	v_cvt_f64_f32_e32 v[2:3], v38
	global_load_dwordx2 v[16:17], v57, s[8:9] offset:3528
	v_cvt_f32_f64_e32 v5, v[20:21]
	v_cvt_f32_f64_e32 v6, v[32:33]
	v_mul_f64 v[14:15], v[2:3], s[0:1]
	v_mul_f32_e32 v2, v8, v19
	v_fma_f32 v2, v18, v9, -v2
	v_cvt_f64_f32_e32 v[7:8], v2
	ds_read2_b64 v[1:4], v1 offset0:117 offset1:166
	v_mov_b32_e32 v20, s3
	v_add_co_u32_e32 v18, vcc, s2, v30
	v_addc_co_u32_e32 v19, vcc, v31, v20, vcc
	global_store_dwordx2 v[18:19], v[5:6], off
	v_mul_f64 v[5:6], v[7:8], s[0:1]
	s_waitcnt lgkmcnt(0)
	v_mul_f32_e32 v8, v2, v27
	v_fmac_f32_e32 v8, v1, v26
	v_cvt_f32_f64_e32 v7, v[14:15]
	v_cvt_f64_f32_e32 v[14:15], v8
	v_mov_b32_e32 v9, s3
	v_add_co_u32_e32 v18, vcc, s2, v18
	v_cvt_f32_f64_e32 v8, v[5:6]
	v_mul_f64 v[5:6], v[14:15], s[0:1]
	global_load_dwordx2 v[14:15], v57, s[8:9] offset:3920
	v_addc_co_u32_e32 v19, vcc, v19, v9, vcc
	s_movk_i32 s4, 0x1000
	global_store_dwordx2 v[18:19], v[7:8], off
	v_add_co_u32_e32 v7, vcc, s4, v34
	v_addc_co_u32_e32 v8, vcc, 0, v35, vcc
	global_load_dwordx2 v[20:21], v[7:8], off offset:216
	v_mul_f32_e32 v1, v1, v27
	v_fma_f32 v1, v26, v2, -v1
	v_cvt_f64_f32_e32 v[1:2], v1
	v_cvt_f32_f64_e32 v5, v[5:6]
	v_add_co_u32_e32 v18, vcc, s2, v18
	v_mul_f64 v[1:2], v[1:2], s[0:1]
	v_addc_co_u32_e32 v19, vcc, v19, v9, vcc
	v_cvt_f32_f64_e32 v6, v[1:2]
	s_waitcnt vmcnt(10)
	v_mul_f32_e32 v1, v4, v29
	v_fmac_f32_e32 v1, v3, v28
	v_cvt_f64_f32_e32 v[22:23], v1
	v_mul_f32_e32 v1, v3, v29
	v_fma_f32 v1, v28, v4, -v1
	v_cvt_f64_f32_e32 v[24:25], v1
	ds_read2_b64 v[1:4], v0 offset0:87 offset1:136
	global_store_dwordx2 v[18:19], v[5:6], off
	v_mul_f64 v[5:6], v[22:23], s[0:1]
	v_mul_f64 v[22:23], v[24:25], s[0:1]
	v_add_co_u32_e32 v18, vcc, s2, v18
	s_waitcnt vmcnt(10) lgkmcnt(0)
	v_mul_f32_e32 v9, v2, v13
	v_fmac_f32_e32 v9, v1, v12
	v_mul_f32_e32 v1, v1, v13
	v_fma_f32 v1, v12, v2, -v1
	v_cvt_f64_f32_e32 v[1:2], v1
	v_cvt_f64_f32_e32 v[24:25], v9
	v_cvt_f32_f64_e32 v5, v[5:6]
	v_cvt_f32_f64_e32 v6, v[22:23]
	v_mul_f64 v[1:2], v[1:2], s[0:1]
	v_mul_f64 v[12:13], v[24:25], s[0:1]
	v_mov_b32_e32 v9, s3
	v_addc_co_u32_e32 v19, vcc, v19, v9, vcc
	global_store_dwordx2 v[18:19], v[5:6], off
	v_mov_b32_e32 v22, s3
	v_add_co_u32_e32 v18, vcc, s2, v18
	v_cvt_f32_f64_e32 v6, v[1:2]
	s_waitcnt vmcnt(10)
	v_mul_f32_e32 v1, v4, v11
	v_fmac_f32_e32 v1, v3, v10
	v_cvt_f32_f64_e32 v5, v[12:13]
	v_cvt_f64_f32_e32 v[12:13], v1
	v_mul_f32_e32 v1, v3, v11
	v_fma_f32 v1, v10, v4, -v1
	v_cvt_f64_f32_e32 v[9:10], v1
	ds_read2_b64 v[0:3], v0 offset0:185 offset1:234
	v_addc_co_u32_e32 v19, vcc, v19, v22, vcc
	global_store_dwordx2 v[18:19], v[5:6], off
	v_mul_f64 v[4:5], v[12:13], s[0:1]
	s_waitcnt vmcnt(7) lgkmcnt(0)
	v_mul_f32_e32 v6, v1, v17
	v_mul_f64 v[9:10], v[9:10], s[0:1]
	v_fmac_f32_e32 v6, v0, v16
	v_mul_f32_e32 v0, v0, v17
	v_fma_f32 v0, v16, v1, -v0
	v_cvt_f64_f32_e32 v[0:1], v0
	v_cvt_f64_f32_e32 v[11:12], v6
	v_cvt_f32_f64_e32 v4, v[4:5]
	v_mov_b32_e32 v6, s3
	v_mul_f64 v[0:1], v[0:1], s[0:1]
	v_cvt_f32_f64_e32 v5, v[9:10]
	v_mul_f64 v[9:10], v[11:12], s[0:1]
	v_add_co_u32_e32 v11, vcc, s2, v18
	v_addc_co_u32_e32 v12, vcc, v19, v6, vcc
	global_store_dwordx2 v[11:12], v[4:5], off
	v_cvt_f32_f64_e32 v5, v[0:1]
	s_waitcnt vmcnt(6)
	v_mul_f32_e32 v0, v3, v15
	v_fmac_f32_e32 v0, v2, v14
	v_cvt_f32_f64_e32 v4, v[9:10]
	v_cvt_f64_f32_e32 v[9:10], v0
	v_mul_f32_e32 v0, v2, v15
	v_fma_f32 v0, v14, v3, -v0
	v_cvt_f64_f32_e32 v[13:14], v0
	v_add_u32_e32 v0, 0x1000, v57
	ds_read2_b64 v[0:3], v0 offset0:27 offset1:76
	v_add_co_u32_e32 v11, vcc, s2, v11
	v_addc_co_u32_e32 v12, vcc, v12, v6, vcc
	global_store_dwordx2 v[11:12], v[4:5], off
	v_mul_f64 v[4:5], v[9:10], s[0:1]
	v_mul_f64 v[9:10], v[13:14], s[0:1]
	s_waitcnt vmcnt(5) lgkmcnt(0)
	v_mul_f32_e32 v6, v1, v21
	v_fmac_f32_e32 v6, v0, v20
	v_mul_f32_e32 v0, v0, v21
	v_fma_f32 v0, v20, v1, -v0
	v_cvt_f64_f32_e32 v[13:14], v6
	v_cvt_f64_f32_e32 v[0:1], v0
	v_cvt_f32_f64_e32 v4, v[4:5]
	v_cvt_f32_f64_e32 v5, v[9:10]
	v_mul_f64 v[9:10], v[13:14], s[0:1]
	v_mul_f64 v[0:1], v[0:1], s[0:1]
	v_mov_b32_e32 v6, s3
	v_add_co_u32_e32 v11, vcc, s2, v11
	v_addc_co_u32_e32 v12, vcc, v12, v6, vcc
	global_store_dwordx2 v[11:12], v[4:5], off
	v_cvt_f32_f64_e32 v4, v[9:10]
	v_cvt_f32_f64_e32 v5, v[0:1]
	v_mov_b32_e32 v1, s3
	v_add_co_u32_e32 v0, vcc, s2, v11
	v_addc_co_u32_e32 v1, vcc, v12, v1, vcc
	global_store_dwordx2 v[0:1], v[4:5], off
	global_load_dwordx2 v[4:5], v[7:8], off offset:608
	v_add_co_u32_e32 v0, vcc, s2, v0
	s_waitcnt vmcnt(0)
	v_mul_f32_e32 v6, v3, v5
	v_fmac_f32_e32 v6, v2, v4
	v_mul_f32_e32 v2, v2, v5
	v_fma_f32 v2, v4, v3, -v2
	v_cvt_f64_f32_e32 v[6:7], v6
	v_cvt_f64_f32_e32 v[2:3], v2
	v_mul_f64 v[4:5], v[6:7], s[0:1]
	v_mul_f64 v[2:3], v[2:3], s[0:1]
	v_cvt_f32_f64_e32 v4, v[4:5]
	v_cvt_f32_f64_e32 v5, v[2:3]
	v_mov_b32_e32 v2, s3
	v_addc_co_u32_e32 v1, vcc, v1, v2, vcc
	global_store_dwordx2 v[0:1], v[4:5], off
.LBB0_15:
	s_endpgm
	.section	.rodata,"a",@progbits
	.p2align	6, 0x0
	.amdhsa_kernel bluestein_single_back_len637_dim1_sp_op_CI_CI
		.amdhsa_group_segment_fixed_size 5096
		.amdhsa_private_segment_fixed_size 0
		.amdhsa_kernarg_size 104
		.amdhsa_user_sgpr_count 6
		.amdhsa_user_sgpr_private_segment_buffer 1
		.amdhsa_user_sgpr_dispatch_ptr 0
		.amdhsa_user_sgpr_queue_ptr 0
		.amdhsa_user_sgpr_kernarg_segment_ptr 1
		.amdhsa_user_sgpr_dispatch_id 0
		.amdhsa_user_sgpr_flat_scratch_init 0
		.amdhsa_user_sgpr_private_segment_size 0
		.amdhsa_uses_dynamic_stack 0
		.amdhsa_system_sgpr_private_segment_wavefront_offset 0
		.amdhsa_system_sgpr_workgroup_id_x 1
		.amdhsa_system_sgpr_workgroup_id_y 0
		.amdhsa_system_sgpr_workgroup_id_z 0
		.amdhsa_system_sgpr_workgroup_info 0
		.amdhsa_system_vgpr_workitem_id 0
		.amdhsa_next_free_vgpr 144
		.amdhsa_next_free_sgpr 18
		.amdhsa_reserve_vcc 1
		.amdhsa_reserve_flat_scratch 0
		.amdhsa_float_round_mode_32 0
		.amdhsa_float_round_mode_16_64 0
		.amdhsa_float_denorm_mode_32 3
		.amdhsa_float_denorm_mode_16_64 3
		.amdhsa_dx10_clamp 1
		.amdhsa_ieee_mode 1
		.amdhsa_fp16_overflow 0
		.amdhsa_exception_fp_ieee_invalid_op 0
		.amdhsa_exception_fp_denorm_src 0
		.amdhsa_exception_fp_ieee_div_zero 0
		.amdhsa_exception_fp_ieee_overflow 0
		.amdhsa_exception_fp_ieee_underflow 0
		.amdhsa_exception_fp_ieee_inexact 0
		.amdhsa_exception_int_div_zero 0
	.end_amdhsa_kernel
	.text
.Lfunc_end0:
	.size	bluestein_single_back_len637_dim1_sp_op_CI_CI, .Lfunc_end0-bluestein_single_back_len637_dim1_sp_op_CI_CI
                                        ; -- End function
	.section	.AMDGPU.csdata,"",@progbits
; Kernel info:
; codeLenInByte = 11872
; NumSgprs: 22
; NumVgprs: 144
; ScratchSize: 0
; MemoryBound: 0
; FloatMode: 240
; IeeeMode: 1
; LDSByteSize: 5096 bytes/workgroup (compile time only)
; SGPRBlocks: 2
; VGPRBlocks: 35
; NumSGPRsForWavesPerEU: 22
; NumVGPRsForWavesPerEU: 144
; Occupancy: 1
; WaveLimiterHint : 1
; COMPUTE_PGM_RSRC2:SCRATCH_EN: 0
; COMPUTE_PGM_RSRC2:USER_SGPR: 6
; COMPUTE_PGM_RSRC2:TRAP_HANDLER: 0
; COMPUTE_PGM_RSRC2:TGID_X_EN: 1
; COMPUTE_PGM_RSRC2:TGID_Y_EN: 0
; COMPUTE_PGM_RSRC2:TGID_Z_EN: 0
; COMPUTE_PGM_RSRC2:TIDIG_COMP_CNT: 0
	.type	__hip_cuid_e72c9340214231cf,@object ; @__hip_cuid_e72c9340214231cf
	.section	.bss,"aw",@nobits
	.globl	__hip_cuid_e72c9340214231cf
__hip_cuid_e72c9340214231cf:
	.byte	0                               ; 0x0
	.size	__hip_cuid_e72c9340214231cf, 1

	.ident	"AMD clang version 19.0.0git (https://github.com/RadeonOpenCompute/llvm-project roc-6.4.0 25133 c7fe45cf4b819c5991fe208aaa96edf142730f1d)"
	.section	".note.GNU-stack","",@progbits
	.addrsig
	.addrsig_sym __hip_cuid_e72c9340214231cf
	.amdgpu_metadata
---
amdhsa.kernels:
  - .args:
      - .actual_access:  read_only
        .address_space:  global
        .offset:         0
        .size:           8
        .value_kind:     global_buffer
      - .actual_access:  read_only
        .address_space:  global
        .offset:         8
        .size:           8
        .value_kind:     global_buffer
      - .actual_access:  read_only
        .address_space:  global
        .offset:         16
        .size:           8
        .value_kind:     global_buffer
      - .actual_access:  read_only
        .address_space:  global
        .offset:         24
        .size:           8
        .value_kind:     global_buffer
      - .actual_access:  read_only
        .address_space:  global
        .offset:         32
        .size:           8
        .value_kind:     global_buffer
      - .offset:         40
        .size:           8
        .value_kind:     by_value
      - .address_space:  global
        .offset:         48
        .size:           8
        .value_kind:     global_buffer
      - .address_space:  global
        .offset:         56
        .size:           8
        .value_kind:     global_buffer
      - .address_space:  global
        .offset:         64
        .size:           8
        .value_kind:     global_buffer
      - .address_space:  global
        .offset:         72
        .size:           8
        .value_kind:     global_buffer
      - .offset:         80
        .size:           4
        .value_kind:     by_value
      - .address_space:  global
        .offset:         88
        .size:           8
        .value_kind:     global_buffer
      - .address_space:  global
        .offset:         96
        .size:           8
        .value_kind:     global_buffer
    .group_segment_fixed_size: 5096
    .kernarg_segment_align: 8
    .kernarg_segment_size: 104
    .language:       OpenCL C
    .language_version:
      - 2
      - 0
    .max_flat_workgroup_size: 91
    .name:           bluestein_single_back_len637_dim1_sp_op_CI_CI
    .private_segment_fixed_size: 0
    .sgpr_count:     22
    .sgpr_spill_count: 0
    .symbol:         bluestein_single_back_len637_dim1_sp_op_CI_CI.kd
    .uniform_work_group_size: 1
    .uses_dynamic_stack: false
    .vgpr_count:     144
    .vgpr_spill_count: 0
    .wavefront_size: 64
amdhsa.target:   amdgcn-amd-amdhsa--gfx906
amdhsa.version:
  - 1
  - 2
...

	.end_amdgpu_metadata
